;; amdgpu-corpus repo=ROCm/rocFFT kind=compiled arch=gfx1030 opt=O3
	.text
	.amdgcn_target "amdgcn-amd-amdhsa--gfx1030"
	.amdhsa_code_object_version 6
	.protected	bluestein_single_back_len1071_dim1_half_op_CI_CI ; -- Begin function bluestein_single_back_len1071_dim1_half_op_CI_CI
	.globl	bluestein_single_back_len1071_dim1_half_op_CI_CI
	.p2align	8
	.type	bluestein_single_back_len1071_dim1_half_op_CI_CI,@function
bluestein_single_back_len1071_dim1_half_op_CI_CI: ; @bluestein_single_back_len1071_dim1_half_op_CI_CI
; %bb.0:
	s_load_dwordx4 s[0:3], s[4:5], 0x28
	v_mul_u32_u24_e32 v1, 0x227, v0
	v_mov_b32_e32 v17, 0
	v_lshrrev_b32_e32 v1, 16, v1
	v_add_nc_u32_e32 v16, s6, v1
	s_waitcnt lgkmcnt(0)
	v_cmp_gt_u64_e32 vcc_lo, s[0:1], v[16:17]
	s_and_saveexec_b32 s0, vcc_lo
	s_cbranch_execz .LBB0_23
; %bb.1:
	s_clause 0x1
	s_load_dwordx2 s[8:9], s[4:5], 0x0
	s_load_dwordx2 s[10:11], s[4:5], 0x38
	v_mul_lo_u16 v1, 0x77, v1
	v_sub_nc_u16 v0, v0, v1
	v_and_b32_e32 v44, 0xffff, v0
	v_cmp_gt_u16_e32 vcc_lo, 63, v0
	v_lshlrev_b32_e32 v43, 2, v44
	s_and_saveexec_b32 s1, vcc_lo
	s_cbranch_execz .LBB0_3
; %bb.2:
	s_load_dwordx2 s[6:7], s[4:5], 0x18
	s_waitcnt lgkmcnt(0)
	global_load_dword v8, v43, s[8:9]
	v_add_nc_u32_e32 v37, 0x400, v43
	v_add_nc_u32_e32 v38, 0x600, v43
	;; [unrolled: 1-line block ×3, first 2 shown]
	s_load_dwordx4 s[12:15], s[6:7], 0x0
	s_waitcnt lgkmcnt(0)
	v_mad_u64_u32 v[0:1], null, s14, v16, 0
	v_mad_u64_u32 v[2:3], null, s12, v44, 0
	s_mul_i32 s6, s13, 0xfc
	s_mul_hi_u32 s7, s12, 0xfc
	v_mad_u64_u32 v[4:5], null, s15, v16, v[1:2]
	v_mad_u64_u32 v[5:6], null, s13, v44, v[3:4]
	v_mov_b32_e32 v1, v4
	v_add_co_u32 v6, s0, s8, v43
	v_add_co_ci_u32_e64 v7, null, s9, 0, s0
	v_lshlrev_b64 v[0:1], 2, v[0:1]
	v_mov_b32_e32 v3, v5
	v_add_co_u32 v0, s0, s2, v0
	v_lshlrev_b64 v[2:3], 2, v[2:3]
	v_add_co_ci_u32_e64 v1, s0, s3, v1, s0
	s_mul_i32 s2, s12, 0xfc
	s_add_i32 s3, s7, s6
	v_add_co_u32 v0, s0, v0, v2
	v_add_co_ci_u32_e64 v1, s0, v1, v3, s0
	v_add_co_u32 v2, s0, v0, s2
	v_add_co_ci_u32_e64 v3, s0, s3, v1, s0
	s_clause 0x1
	global_load_dword v9, v[0:1], off
	global_load_dword v10, v[2:3], off
	v_add_co_u32 v4, s0, v2, s2
	v_add_co_ci_u32_e64 v5, s0, s3, v3, s0
	s_clause 0x1
	global_load_dword v11, v43, s[8:9] offset:252
	global_load_dword v12, v43, s[8:9] offset:504
	v_add_co_u32 v0, s0, v4, s2
	v_add_co_ci_u32_e64 v1, s0, s3, v5, s0
	s_clause 0x1
	global_load_dword v13, v[4:5], off
	global_load_dword v14, v[0:1], off
	v_add_co_u32 v2, s0, v0, s2
	v_add_co_ci_u32_e64 v3, s0, s3, v1, s0
	v_add_co_u32 v0, s0, v2, s2
	v_add_co_ci_u32_e64 v1, s0, s3, v3, s0
	s_clause 0x5
	global_load_dword v15, v43, s[8:9] offset:756
	global_load_dword v17, v43, s[8:9] offset:1008
	;; [unrolled: 1-line block ×6, first 2 shown]
	global_load_dword v22, v[2:3], off
	global_load_dword v23, v[0:1], off
	v_add_co_u32 v0, s0, v0, s2
	v_add_co_ci_u32_e64 v1, s0, s3, v1, s0
	v_add_co_u32 v2, s0, 0x800, v6
	v_add_co_ci_u32_e64 v3, s0, 0, v7, s0
	;; [unrolled: 2-line block ×3, first 2 shown]
	global_load_dword v6, v[0:1], off
	v_add_co_u32 v0, s0, v4, s2
	v_add_co_ci_u32_e64 v1, s0, s3, v5, s0
	global_load_dword v7, v[4:5], off
	v_add_co_u32 v4, s0, v0, s2
	v_add_co_ci_u32_e64 v5, s0, s3, v1, s0
	;; [unrolled: 3-line block ×3, first 2 shown]
	global_load_dword v25, v[2:3], off offset:220
	global_load_dword v26, v[4:5], off
	global_load_dword v27, v[0:1], off
	v_add_co_u32 v0, s0, v0, s2
	v_add_co_ci_u32_e64 v1, s0, s3, v1, s0
	s_clause 0x3
	global_load_dword v28, v[2:3], off offset:472
	global_load_dword v29, v[2:3], off offset:724
	;; [unrolled: 1-line block ×4, first 2 shown]
	v_add_co_u32 v4, s0, v0, s2
	v_add_co_ci_u32_e64 v5, s0, s3, v1, s0
	global_load_dword v32, v[0:1], off
	v_add_co_u32 v0, s0, v4, s2
	v_add_co_ci_u32_e64 v1, s0, s3, v5, s0
	global_load_dword v33, v[4:5], off
	v_add_co_u32 v4, s0, v0, s2
	v_add_co_ci_u32_e64 v5, s0, s3, v1, s0
	global_load_dword v34, v[0:1], off
	v_add_co_u32 v0, s0, v4, s2
	v_add_co_ci_u32_e64 v1, s0, s3, v5, s0
	global_load_dword v35, v[4:5], off
	v_add_co_u32 v4, s0, v0, s2
	v_add_co_ci_u32_e64 v5, s0, s3, v1, s0
	global_load_dword v36, v[2:3], off offset:1480
	global_load_dword v0, v[0:1], off
	global_load_dword v1, v[4:5], off
	s_clause 0x1
	global_load_dword v4, v[2:3], off offset:1732
	global_load_dword v2, v[2:3], off offset:1984
	v_add_nc_u32_e32 v5, 0x200, v43
	s_waitcnt vmcnt(32)
	v_lshrrev_b32_e32 v3, 16, v9
	v_mul_f16_sdwa v39, v8, v9 dst_sel:DWORD dst_unused:UNUSED_PAD src0_sel:WORD_1 src1_sel:DWORD
	s_waitcnt vmcnt(31)
	v_lshrrev_b32_e32 v41, 16, v10
	v_mul_f16_sdwa v40, v8, v3 dst_sel:DWORD dst_unused:UNUSED_PAD src0_sel:WORD_1 src1_sel:DWORD
	s_waitcnt vmcnt(30)
	v_mul_f16_sdwa v45, v11, v10 dst_sel:DWORD dst_unused:UNUSED_PAD src0_sel:WORD_1 src1_sel:DWORD
	v_fma_f16 v3, v8, v3, -v39
	v_fmac_f16_e32 v40, v8, v9
	v_mul_f16_sdwa v8, v11, v41 dst_sel:DWORD dst_unused:UNUSED_PAD src0_sel:WORD_1 src1_sel:DWORD
	s_waitcnt vmcnt(28)
	v_lshrrev_b32_e32 v9, 16, v13
	v_fma_f16 v39, v11, v41, -v45
	v_mul_f16_sdwa v41, v12, v13 dst_sel:DWORD dst_unused:UNUSED_PAD src0_sel:WORD_1 src1_sel:DWORD
	v_pack_b32_f16 v3, v40, v3
	v_fmac_f16_e32 v8, v11, v10
	v_mul_f16_sdwa v10, v12, v9 dst_sel:DWORD dst_unused:UNUSED_PAD src0_sel:WORD_1 src1_sel:DWORD
	s_waitcnt vmcnt(27)
	v_lshrrev_b32_e32 v11, 16, v14
	s_waitcnt vmcnt(26)
	v_mul_f16_sdwa v40, v15, v14 dst_sel:DWORD dst_unused:UNUSED_PAD src0_sel:WORD_1 src1_sel:DWORD
	v_fma_f16 v9, v12, v9, -v41
	v_pack_b32_f16 v8, v8, v39
	v_fmac_f16_e32 v10, v12, v13
	v_mul_f16_sdwa v12, v15, v11 dst_sel:DWORD dst_unused:UNUSED_PAD src0_sel:WORD_1 src1_sel:DWORD
	s_waitcnt vmcnt(20)
	v_lshrrev_b32_e32 v13, 16, v22
	v_fma_f16 v11, v15, v11, -v40
	v_mul_f16_sdwa v39, v17, v22 dst_sel:DWORD dst_unused:UNUSED_PAD src0_sel:WORD_1 src1_sel:DWORD
	ds_write2_b32 v43, v3, v8 offset1:63
	v_pack_b32_f16 v3, v10, v9
	v_fmac_f16_e32 v12, v15, v14
	v_mul_f16_sdwa v8, v17, v13 dst_sel:DWORD dst_unused:UNUSED_PAD src0_sel:WORD_1 src1_sel:DWORD
	s_waitcnt vmcnt(19)
	v_lshrrev_b32_e32 v9, 16, v23
	v_mul_f16_sdwa v10, v18, v23 dst_sel:DWORD dst_unused:UNUSED_PAD src0_sel:WORD_1 src1_sel:DWORD
	v_fma_f16 v13, v17, v13, -v39
	v_pack_b32_f16 v11, v12, v11
	v_fmac_f16_e32 v8, v17, v22
	v_mul_f16_sdwa v12, v18, v9 dst_sel:DWORD dst_unused:UNUSED_PAD src0_sel:WORD_1 src1_sel:DWORD
	v_fma_f16 v9, v18, v9, -v10
	s_waitcnt vmcnt(18)
	v_lshrrev_b32_e32 v10, 16, v6
	ds_write2_b32 v43, v3, v11 offset0:126 offset1:189
	v_pack_b32_f16 v3, v8, v13
	s_waitcnt vmcnt(17)
	v_lshrrev_b32_e32 v11, 16, v7
	v_mul_f16_sdwa v14, v19, v6 dst_sel:DWORD dst_unused:UNUSED_PAD src0_sel:WORD_1 src1_sel:DWORD
	v_mul_f16_sdwa v8, v19, v10 dst_sel:DWORD dst_unused:UNUSED_PAD src0_sel:WORD_1 src1_sel:DWORD
	v_fmac_f16_e32 v12, v18, v23
	v_mul_f16_sdwa v13, v20, v7 dst_sel:DWORD dst_unused:UNUSED_PAD src0_sel:WORD_1 src1_sel:DWORD
	v_fma_f16 v10, v19, v10, -v14
	v_fmac_f16_e32 v8, v19, v6
	v_mul_f16_sdwa v6, v20, v11 dst_sel:DWORD dst_unused:UNUSED_PAD src0_sel:WORD_1 src1_sel:DWORD
	v_pack_b32_f16 v9, v12, v9
	v_fma_f16 v11, v20, v11, -v13
	s_waitcnt vmcnt(16)
	v_lshrrev_b32_e32 v12, 16, v24
	v_mul_f16_sdwa v13, v21, v24 dst_sel:DWORD dst_unused:UNUSED_PAD src0_sel:WORD_1 src1_sel:DWORD
	v_fmac_f16_e32 v6, v20, v7
	s_waitcnt vmcnt(14)
	v_lshrrev_b32_e32 v7, 16, v26
	ds_write2_b32 v5, v3, v9 offset0:124 offset1:187
	v_pack_b32_f16 v3, v8, v10
	v_mul_f16_sdwa v5, v21, v12 dst_sel:DWORD dst_unused:UNUSED_PAD src0_sel:WORD_1 src1_sel:DWORD
	v_mul_f16_sdwa v8, v25, v26 dst_sel:DWORD dst_unused:UNUSED_PAD src0_sel:WORD_1 src1_sel:DWORD
	v_pack_b32_f16 v6, v6, v11
	v_mul_f16_sdwa v10, v25, v7 dst_sel:DWORD dst_unused:UNUSED_PAD src0_sel:WORD_1 src1_sel:DWORD
	v_fma_f16 v9, v21, v12, -v13
	v_fmac_f16_e32 v5, v21, v24
	v_fma_f16 v7, v25, v7, -v8
	s_waitcnt vmcnt(13)
	v_lshrrev_b32_e32 v8, 16, v27
	ds_write2_b32 v37, v3, v6 offset0:122 offset1:185
	v_fmac_f16_e32 v10, v25, v26
	s_waitcnt vmcnt(8)
	v_lshrrev_b32_e32 v6, 16, v32
	v_mul_f16_sdwa v11, v28, v27 dst_sel:DWORD dst_unused:UNUSED_PAD src0_sel:WORD_1 src1_sel:DWORD
	v_pack_b32_f16 v3, v5, v9
	v_mul_f16_sdwa v5, v28, v8 dst_sel:DWORD dst_unused:UNUSED_PAD src0_sel:WORD_1 src1_sel:DWORD
	v_mul_f16_sdwa v9, v29, v32 dst_sel:DWORD dst_unused:UNUSED_PAD src0_sel:WORD_1 src1_sel:DWORD
	v_pack_b32_f16 v7, v10, v7
	v_mul_f16_sdwa v10, v29, v6 dst_sel:DWORD dst_unused:UNUSED_PAD src0_sel:WORD_1 src1_sel:DWORD
	v_fma_f16 v8, v28, v8, -v11
	v_fmac_f16_e32 v5, v28, v27
	s_waitcnt vmcnt(7)
	v_lshrrev_b32_e32 v11, 16, v33
	v_fma_f16 v6, v29, v6, -v9
	v_mul_f16_sdwa v9, v30, v33 dst_sel:DWORD dst_unused:UNUSED_PAD src0_sel:WORD_1 src1_sel:DWORD
	v_fmac_f16_e32 v10, v29, v32
	s_waitcnt vmcnt(6)
	v_lshrrev_b32_e32 v12, 16, v34
	v_pack_b32_f16 v5, v5, v8
	v_mul_f16_sdwa v8, v30, v11 dst_sel:DWORD dst_unused:UNUSED_PAD src0_sel:WORD_1 src1_sel:DWORD
	v_fma_f16 v9, v30, v11, -v9
	v_mul_f16_sdwa v11, v31, v34 dst_sel:DWORD dst_unused:UNUSED_PAD src0_sel:WORD_1 src1_sel:DWORD
	v_pack_b32_f16 v6, v10, v6
	v_mul_f16_sdwa v10, v31, v12 dst_sel:DWORD dst_unused:UNUSED_PAD src0_sel:WORD_1 src1_sel:DWORD
	v_fmac_f16_e32 v8, v30, v33
	s_waitcnt vmcnt(5)
	v_lshrrev_b32_e32 v13, 16, v35
	v_fma_f16 v11, v31, v12, -v11
	s_waitcnt vmcnt(4)
	v_mul_f16_sdwa v12, v36, v35 dst_sel:DWORD dst_unused:UNUSED_PAD src0_sel:WORD_1 src1_sel:DWORD
	v_fmac_f16_e32 v10, v31, v34
	s_waitcnt vmcnt(3)
	v_lshrrev_b32_e32 v14, 16, v0
	s_waitcnt vmcnt(2)
	v_lshrrev_b32_e32 v15, 16, v1
	v_pack_b32_f16 v8, v8, v9
	v_mul_f16_sdwa v9, v36, v13 dst_sel:DWORD dst_unused:UNUSED_PAD src0_sel:WORD_1 src1_sel:DWORD
	v_fma_f16 v12, v36, v13, -v12
	s_waitcnt vmcnt(1)
	v_mul_f16_sdwa v13, v4, v0 dst_sel:DWORD dst_unused:UNUSED_PAD src0_sel:WORD_1 src1_sel:DWORD
	v_pack_b32_f16 v10, v10, v11
	v_mul_f16_sdwa v11, v4, v14 dst_sel:DWORD dst_unused:UNUSED_PAD src0_sel:WORD_1 src1_sel:DWORD
	s_waitcnt vmcnt(0)
	v_mul_f16_sdwa v17, v2, v15 dst_sel:DWORD dst_unused:UNUSED_PAD src0_sel:WORD_1 src1_sel:DWORD
	v_mul_f16_sdwa v18, v2, v1 dst_sel:DWORD dst_unused:UNUSED_PAD src0_sel:WORD_1 src1_sel:DWORD
	v_fmac_f16_e32 v9, v36, v35
	v_fma_f16 v13, v4, v14, -v13
	v_fmac_f16_e32 v11, v4, v0
	v_fmac_f16_e32 v17, v2, v1
	v_fma_f16 v0, v2, v15, -v18
	v_add_nc_u32_e32 v1, 0xa00, v43
	v_pack_b32_f16 v2, v9, v12
	v_pack_b32_f16 v4, v11, v13
	v_add_nc_u32_e32 v9, 0xc00, v43
	v_pack_b32_f16 v0, v17, v0
	ds_write2_b32 v38, v3, v7 offset0:120 offset1:183
	ds_write2_b32 v42, v5, v6 offset0:118 offset1:181
	;; [unrolled: 1-line block ×4, first 2 shown]
	ds_write_b32 v43, v0 offset:4032
.LBB0_3:
	s_or_b32 exec_lo, exec_lo, s1
	v_mov_b32_e32 v2, 0
	s_waitcnt lgkmcnt(0)
	s_barrier
	buffer_gl0_inv
                                        ; implicit-def: $vgpr9
                                        ; implicit-def: $vgpr6
                                        ; implicit-def: $vgpr11
                                        ; implicit-def: $vgpr4
                                        ; implicit-def: $vgpr13
                                        ; implicit-def: $vgpr0
                                        ; implicit-def: $vgpr15
                                        ; implicit-def: $vgpr19
	s_and_saveexec_b32 s0, vcc_lo
	s_cbranch_execz .LBB0_5
; %bb.4:
	v_add_nc_u32_e32 v0, 0x200, v43
	v_add_nc_u32_e32 v1, 0x400, v43
	;; [unrolled: 1-line block ×3, first 2 shown]
	ds_read2_b32 v[2:3], v43 offset1:63
	ds_read2_b32 v[14:15], v43 offset0:126 offset1:189
	v_add_nc_u32_e32 v5, 0xa00, v43
	ds_read2_b32 v[12:13], v0 offset0:124 offset1:187
	v_add_nc_u32_e32 v0, 0x800, v43
	v_add_nc_u32_e32 v17, 0xc00, v43
	ds_read2_b32 v[10:11], v1 offset0:122 offset1:185
	ds_read2_b32 v[8:9], v4 offset0:120 offset1:183
	;; [unrolled: 1-line block ×5, first 2 shown]
	ds_read_b32 v19, v43 offset:4032
.LBB0_5:
	s_or_b32 exec_lo, exec_lo, s0
	s_waitcnt lgkmcnt(0)
	v_pk_add_f16 v49, v3, v19 neg_lo:[0,1] neg_hi:[0,1]
	v_mov_b32_e32 v25, 0xb964
	v_pk_add_f16 v35, v19, v3
	v_mov_b32_e32 v46, 0xbb29
	v_mov_b32_e32 v48, 0xbbf7
	v_pk_add_f16 v58, v14, v1 neg_lo:[0,1] neg_hi:[0,1]
	v_mul_f16_sdwa v22, v49, v25 dst_sel:DWORD dst_unused:UNUSED_PAD src0_sel:WORD_1 src1_sel:DWORD
	v_mov_b32_e32 v45, 0xba62
	v_mul_f16_sdwa v29, v49, v46 dst_sel:DWORD dst_unused:UNUSED_PAD src0_sel:WORD_1 src1_sel:DWORD
	v_pk_add_f16 v36, v1, v14
	v_mul_f16_sdwa v20, v58, v48 dst_sel:DWORD dst_unused:UNUSED_PAD src0_sel:WORD_1 src1_sel:DWORD
	v_fmamk_f16 v17, v35, 0x39e9, v22
	v_pk_add_f16 v57, v15, v0 neg_lo:[0,1] neg_hi:[0,1]
	v_mul_f16_sdwa v31, v58, v45 dst_sel:DWORD dst_unused:UNUSED_PAD src0_sel:WORD_1 src1_sel:DWORD
	v_fmamk_f16 v18, v35, 0x3722, v29
	v_fmamk_f16 v24, v36, 0x2de8, v20
	v_mov_b32_e32 v23, 0x31e1
	v_mov_b32_e32 v27, 0xb1e1
	v_pk_add_f16 v38, v0, v15
	v_mul_f16_sdwa v21, v57, v45 dst_sel:DWORD dst_unused:UNUSED_PAD src0_sel:WORD_1 src1_sel:DWORD
	v_pk_add_f16 v55, v12, v5 neg_lo:[0,1] neg_hi:[0,1]
	v_add_f16_e32 v17, v17, v2
	v_fmamk_f16 v34, v36, 0xb8d2, v31
	v_mov_b32_e32 v54, 0x3836
	v_mul_f16_sdwa v32, v57, v23 dst_sel:DWORD dst_unused:UNUSED_PAD src0_sel:WORD_1 src1_sel:DWORD
	v_mov_b32_e32 v59, 0x3bb2
	v_fmamk_f16 v37, v38, 0xb8d2, v21
	v_pk_add_f16 v39, v5, v12
	v_pk_add_f16 v53, v13, v4 neg_lo:[0,1] neg_hi:[0,1]
	v_mul_f16_sdwa v30, v55, v27 dst_sel:DWORD dst_unused:UNUSED_PAD src0_sel:WORD_1 src1_sel:DWORD
	v_add_f16_e32 v18, v18, v2
	v_add_f16_e32 v17, v24, v17
	v_fmamk_f16 v42, v38, 0xbbdd, v32
	v_mov_b32_e32 v47, 0x3964
	v_mul_f16_sdwa v33, v55, v59 dst_sel:DWORD dst_unused:UNUSED_PAD src0_sel:WORD_1 src1_sel:DWORD
	v_pk_add_f16 v40, v4, v13
	v_mul_f16_sdwa v28, v53, v54 dst_sel:DWORD dst_unused:UNUSED_PAD src0_sel:WORD_1 src1_sel:DWORD
	v_fmamk_f16 v51, v39, 0xbbdd, v30
	v_pk_add_f16 v61, v10, v7 neg_lo:[0,1] neg_hi:[0,1]
	v_add_f16_e32 v18, v34, v18
	v_add_f16_e32 v17, v37, v17
	v_mov_b32_e32 v26, 0xb5c8
	v_mov_b32_e32 v23, 0x3b29
	v_fmamk_f16 v56, v39, 0xb461, v33
	v_fmamk_f16 v62, v40, 0xbacd, v28
	v_mul_f16_sdwa v41, v53, v47 dst_sel:DWORD dst_unused:UNUSED_PAD src0_sel:WORD_1 src1_sel:DWORD
	v_pk_add_f16 v52, v7, v10
	v_mul_f16_sdwa v34, v61, v59 dst_sel:DWORD dst_unused:UNUSED_PAD src0_sel:WORD_1 src1_sel:DWORD
	v_add_f16_e32 v18, v42, v18
	v_add_f16_e32 v17, v51, v17
	v_pk_add_f16 v60, v11, v6 neg_lo:[0,1] neg_hi:[0,1]
	v_fmamk_f16 v24, v40, 0x39e9, v41
	v_mul_f16_sdwa v50, v61, v26 dst_sel:DWORD dst_unused:UNUSED_PAD src0_sel:WORD_1 src1_sel:DWORD
	v_fmamk_f16 v42, v52, 0xb461, v34
	v_add_f16_e32 v18, v56, v18
	v_add_f16_e32 v17, v62, v17
	v_pk_add_f16 v56, v6, v11
	v_mul_f16_sdwa v37, v60, v23 dst_sel:DWORD dst_unused:UNUSED_PAD src0_sel:WORD_1 src1_sel:DWORD
	v_mov_b32_e32 v89, 0xbbb2
	v_fmamk_f16 v63, v52, 0x3b76, v50
	v_add_f16_e32 v18, v24, v18
	v_mul_f16_sdwa v51, v60, v48 dst_sel:DWORD dst_unused:UNUSED_PAD src0_sel:WORD_1 src1_sel:DWORD
	v_add_f16_e32 v17, v42, v17
	v_fmamk_f16 v24, v56, 0x3722, v37
	v_mov_b32_e32 v91, 0x35c8
	v_pk_add_f16 v110, v8, v9 neg_lo:[0,1] neg_hi:[0,1]
	v_mul_f16_sdwa v68, v49, v89 dst_sel:DWORD dst_unused:UNUSED_PAD src0_sel:WORD_1 src1_sel:DWORD
	v_add_f16_e32 v18, v63, v18
	v_fmamk_f16 v63, v56, 0x2de8, v51
	v_add_f16_e32 v17, v24, v17
	v_pk_add_f16 v62, v9, v8
	v_mul_f16_sdwa v42, v110, v91 dst_sel:DWORD dst_unused:UNUSED_PAD src0_sel:WORD_1 src1_sel:DWORD
	v_fmamk_f16 v24, v35, 0xb461, v68
	v_mul_f16_sdwa v70, v58, v54 dst_sel:DWORD dst_unused:UNUSED_PAD src0_sel:WORD_1 src1_sel:DWORD
	v_mul_f16_sdwa v82, v49, v45 dst_sel:DWORD dst_unused:UNUSED_PAD src0_sel:WORD_1 src1_sel:DWORD
	v_add_f16_e32 v63, v63, v18
	v_fmamk_f16 v18, v62, 0x3b76, v42
	v_add_f16_e32 v24, v24, v2
	v_fmamk_f16 v54, v36, 0xbacd, v70
	v_fmamk_f16 v64, v35, 0xb8d2, v82
	v_mul_f16_sdwa v84, v58, v59 dst_sel:DWORD dst_unused:UNUSED_PAD src0_sel:WORD_1 src1_sel:DWORD
	v_mul_f16_sdwa v72, v57, v47 dst_sel:DWORD dst_unused:UNUSED_PAD src0_sel:WORD_1 src1_sel:DWORD
	v_add_f16_e32 v18, v18, v17
	v_add_f16_e32 v17, v54, v24
	;; [unrolled: 1-line block ×3, first 2 shown]
	v_fmamk_f16 v54, v36, 0xb461, v84
	v_fmamk_f16 v64, v38, 0x39e9, v72
	v_mul_f16_sdwa v85, v57, v26 dst_sel:DWORD dst_unused:UNUSED_PAD src0_sel:WORD_1 src1_sel:DWORD
	v_mul_f16_sdwa v73, v55, v46 dst_sel:DWORD dst_unused:UNUSED_PAD src0_sel:WORD_1 src1_sel:DWORD
	v_mov_b32_e32 v101, 0xb836
	v_add_f16_e32 v24, v54, v24
	v_add_f16_e32 v17, v64, v17
	v_fmamk_f16 v54, v38, 0x3b76, v85
	v_fmamk_f16 v64, v39, 0x3722, v73
	v_mul_f16_sdwa v86, v55, v101 dst_sel:DWORD dst_unused:UNUSED_PAD src0_sel:WORD_1 src1_sel:DWORD
	v_mul_f16_sdwa v74, v53, v27 dst_sel:DWORD dst_unused:UNUSED_PAD src0_sel:WORD_1 src1_sel:DWORD
	v_mov_b32_e32 v65, 0x3bf7
	v_add_f16_e32 v24, v54, v24
	v_add_f16_e32 v17, v64, v17
	v_fmamk_f16 v64, v39, 0xbacd, v86
	v_fmamk_f16 v66, v40, 0xbbdd, v74
	v_mul_f16_sdwa v81, v53, v65 dst_sel:DWORD dst_unused:UNUSED_PAD src0_sel:WORD_1 src1_sel:DWORD
	v_mul_f16_sdwa v54, v110, v101 dst_sel:DWORD dst_unused:UNUSED_PAD src0_sel:WORD_1 src1_sel:DWORD
	;; [unrolled: 1-line block ×3, first 2 shown]
	v_add_f16_e32 v24, v64, v24
	v_add_f16_e32 v17, v66, v17
	v_fmamk_f16 v64, v40, 0x2de8, v81
	v_mul_f16_sdwa v83, v61, v25 dst_sel:DWORD dst_unused:UNUSED_PAD src0_sel:WORD_1 src1_sel:DWORD
	v_fmamk_f16 v65, v52, 0x2de8, v71
	v_mul_f16_sdwa v69, v60, v26 dst_sel:DWORD dst_unused:UNUSED_PAD src0_sel:WORD_1 src1_sel:DWORD
	v_fmamk_f16 v66, v62, 0xbacd, v54
	v_add_f16_e32 v24, v64, v24
	v_fmamk_f16 v64, v52, 0x39e9, v83
	v_add_f16_e32 v65, v65, v17
	;; [unrolled: 2-line block ×3, first 2 shown]
	v_mul_f16_sdwa v63, v49, v101 dst_sel:DWORD dst_unused:UNUSED_PAD src0_sel:WORD_1 src1_sel:DWORD
	v_add_f16_e32 v24, v64, v24
	v_mul_f16_sdwa v77, v57, v48 dst_sel:DWORD dst_unused:UNUSED_PAD src0_sel:WORD_1 src1_sel:DWORD
	v_add_f16_e32 v64, v67, v65
	v_mul_f16_sdwa v65, v58, v23 dst_sel:DWORD dst_unused:UNUSED_PAD src0_sel:WORD_1 src1_sel:DWORD
	v_fma_f16 v75, v35, 0xbacd, -v63
	v_fmac_f16_e32 v63, 0xbacd, v35
	v_pk_mul_f16 v79, 0xb1e1, v49 op_sel_hi:[0,1]
	v_fma_f16 v80, v38, 0x2de8, -v77
	v_fma_f16 v76, v36, 0x3722, -v65
	v_fmac_f16_e32 v65, 0x3722, v36
	v_add_f16_e32 v63, v63, v2
	v_mov_b32_e32 v108, 0x3a62
	v_fmac_f16_e32 v77, 0x2de8, v38
	v_pk_mul_f16 v92, 0x35c8, v58 op_sel_hi:[0,1]
	v_mul_f16_sdwa v93, v110, v23 dst_sel:DWORD dst_unused:UNUSED_PAD src0_sel:WORD_1 src1_sel:DWORD
	v_add_f16_e32 v63, v65, v63
	v_pk_fma_f16 v65, 0xbbdd, v35, v79 op_sel:[0,0,1] op_sel_hi:[0,1,0]
	v_mul_f16_sdwa v23, v55, v108 dst_sel:DWORD dst_unused:UNUSED_PAD src0_sel:WORD_1 src1_sel:DWORD
	v_pk_mul_f16 v96, 0xb836, v57 op_sel_hi:[0,1]
	v_pk_mul_f16 v103, 0x3964, v55 op_sel_hi:[0,1]
	v_add_f16_e32 v63, v77, v63
	v_pk_add_f16 v65, v65, v2
	v_pk_fma_f16 v77, 0x3b76, v36, v92 op_sel:[0,0,1] op_sel_hi:[0,1,0]
	v_fma_f16 v97, v39, 0xb8d2, -v23
	v_fmac_f16_e32 v23, 0xb8d2, v39
	v_mul_f16_sdwa v78, v53, v26 dst_sel:DWORD dst_unused:UNUSED_PAD src0_sel:WORD_1 src1_sel:DWORD
	v_pk_mul_f16 v112, 0xba62, v53 op_sel_hi:[0,1]
	v_pk_add_f16 v65, v77, v65
	v_pk_fma_f16 v77, 0xbacd, v38, v96 op_sel:[0,0,1] op_sel_hi:[0,1,0]
	v_add_f16_e32 v23, v23, v63
	v_mul_f16_sdwa v90, v60, v27 dst_sel:DWORD dst_unused:UNUSED_PAD src0_sel:WORD_1 src1_sel:DWORD
	v_fma_f16 v105, v40, 0x3b76, -v78
	v_fmac_f16_e32 v78, 0x3b76, v40
	v_pk_add_f16 v63, v77, v65
	v_pk_fma_f16 v65, 0x39e9, v39, v103 op_sel:[0,0,1] op_sel_hi:[0,1,0]
	v_mul_f16_sdwa v87, v61, v27 dst_sel:DWORD dst_unused:UNUSED_PAD src0_sel:WORD_1 src1_sel:DWORD
	v_pk_mul_f16 v113, 0x3b29, v61 op_sel_hi:[0,1]
	v_fmamk_f16 v66, v56, 0xbbdd, v90
	v_mul_f16_sdwa v67, v110, v45 dst_sel:DWORD dst_unused:UNUSED_PAD src0_sel:WORD_1 src1_sel:DWORD
	v_pk_add_f16 v63, v65, v63
	v_pk_fma_f16 v65, 0xb8d2, v40, v112 op_sel:[0,0,1] op_sel_hi:[0,1,0]
	v_add_f16_e32 v23, v78, v23
	v_fma_f16 v120, v52, 0xbbdd, -v87
	v_fmac_f16_e32 v87, 0xbbdd, v52
	v_mul_f16_sdwa v78, v60, v47 dst_sel:DWORD dst_unused:UNUSED_PAD src0_sel:WORD_1 src1_sel:DWORD
	v_pk_add_f16 v63, v65, v63
	v_pk_fma_f16 v65, 0x3722, v52, v113 op_sel:[0,0,1] op_sel_hi:[0,1,0]
	v_pk_mul_f16 v132, 0xbbb2, v60 op_sel_hi:[0,1]
	v_add_f16_e32 v66, v66, v24
	v_fmamk_f16 v24, v62, 0xb8d2, v67
	v_fmamk_f16 v77, v62, 0x3722, v93
	v_add_f16_e32 v87, v87, v23
	v_fma_f16 v139, v56, 0x39e9, -v78
	v_fmac_f16_e32 v78, 0x39e9, v56
	v_pk_add_f16 v63, v65, v63
	v_pk_fma_f16 v65, 0xb461, v56, v132 op_sel:[0,0,1] op_sel_hi:[0,1,0]
	v_mul_f16_sdwa v88, v110, v89 dst_sel:DWORD dst_unused:UNUSED_PAD src0_sel:WORD_1 src1_sel:DWORD
	v_add_f16_e32 v24, v24, v64
	v_add_f16_e32 v23, v77, v66
	;; [unrolled: 1-line block ×3, first 2 shown]
	v_pk_add_f16 v78, v65, v63
	v_fma_f16 v152, v62, 0xb461, -v88
	v_fmac_f16_e32 v88, 0xb461, v62
	v_pk_mul_f16 v153, 0x3bf7, v110 op_sel_hi:[0,1]
	v_mul_f16_sdwa v63, v49, v26 dst_sel:DWORD dst_unused:UNUSED_PAD src0_sel:WORD_1 src1_sel:DWORD
	v_lshrrev_b32_e32 v117, 16, v35
	v_mul_f16_e32 v66, 0xb5c8, v49
	v_add_f16_e32 v26, v88, v64
	v_pk_fma_f16 v87, 0x2de8, v62, v153 op_sel:[0,0,1] op_sel_hi:[0,1,0]
	v_fmamk_f16 v77, v35, 0x3b76, v63
	v_mul_f16_sdwa v64, v58, v25 dst_sel:DWORD dst_unused:UNUSED_PAD src0_sel:WORD_1 src1_sel:DWORD
	v_fma_f16 v25, v117, 0x3b76, -v66
	v_lshrrev_b32_e32 v111, 16, v36
	v_mul_f16_e32 v65, 0xb964, v58
	v_add_f16_e32 v88, v77, v2
	v_mul_f16_e32 v77, 0xb964, v49
	v_fmamk_f16 v94, v36, 0x39e9, v64
	v_add_f16_sdwa v95, v25, v2 dst_sel:DWORD dst_unused:UNUSED_PAD src0_sel:DWORD src1_sel:WORD_1
	v_pk_add_f16 v25, v87, v78
	v_mul_f16_e32 v87, 0xbb29, v49
	v_fma_f16 v98, v111, 0x39e9, -v65
	v_fma_f16 v78, v117, 0x39e9, -v77
	v_add_f16_e32 v99, v94, v88
	v_mul_f16_sdwa v94, v49, v48 dst_sel:DWORD dst_unused:UNUSED_PAD src0_sel:WORD_1 src1_sel:DWORD
	v_fma_f16 v100, v117, 0x3722, -v87
	v_mul_f16_e32 v88, 0xba62, v58
	v_add_f16_e32 v104, v98, v95
	v_add_f16_sdwa v98, v78, v2 dst_sel:DWORD dst_unused:UNUSED_PAD src0_sel:DWORD src1_sel:WORD_1
	v_mul_f16_e32 v78, 0xbbf7, v58
	v_fmamk_f16 v102, v35, 0x2de8, v94
	v_mul_f16_sdwa v95, v58, v27 dst_sel:DWORD dst_unused:UNUSED_PAD src0_sel:WORD_1 src1_sel:DWORD
	v_add_f16_sdwa v107, v100, v2 dst_sel:DWORD dst_unused:UNUSED_PAD src0_sel:DWORD src1_sel:WORD_1
	v_fma_f16 v109, v111, 0xb8d2, -v88
	v_mul_f16_e32 v116, 0xbbb2, v49
	v_fma_f16 v106, v111, 0x2de8, -v78
	v_add_f16_e32 v102, v102, v2
	v_fmamk_f16 v114, v36, 0xbbdd, v95
	v_mul_f16_e32 v100, 0xbbf7, v49
	v_add_f16_e32 v109, v109, v107
	v_fma_f16 v107, v117, 0xb461, -v116
	v_mul_f16_e32 v118, 0x3836, v58
	v_add_f16_e32 v106, v106, v98
	v_add_f16_e32 v115, v114, v102
	v_fma_f16 v98, v117, 0x2de8, -v100
	v_mul_f16_e32 v102, 0xb1e1, v58
	v_mul_f16_e32 v130, 0xba62, v49
	v_add_f16_sdwa v107, v107, v2 dst_sel:DWORD dst_unused:UNUSED_PAD src0_sel:DWORD src1_sel:WORD_1
	v_fma_f16 v119, v111, 0xbacd, -v118
	v_mul_f16_e32 v49, 0xb836, v49
	v_add_f16_sdwa v98, v98, v2 dst_sel:DWORD dst_unused:UNUSED_PAD src0_sel:DWORD src1_sel:WORD_1
	v_fma_f16 v114, v111, 0xbbdd, -v102
	v_fma_f16 v121, v117, 0xb8d2, -v130
	v_mul_f16_e32 v134, 0x3bb2, v58
	v_add_f16_e32 v119, v119, v107
	v_fmamk_f16 v107, v117, 0xbacd, v49
	v_mul_f16_e32 v58, 0x3b29, v58
	v_fma_f16 v49, v117, 0xbacd, -v49
	v_add_f16_e32 v122, v114, v98
	v_add_f16_sdwa v98, v121, v2 dst_sel:DWORD dst_unused:UNUSED_PAD src0_sel:DWORD src1_sel:WORD_1
	v_add_f16_e32 v75, v75, v2
	v_fmamk_f16 v121, v111, 0x3722, v58
	v_fma_f16 v58, v111, 0x3722, -v58
	v_add_f16_sdwa v49, v49, v2 dst_sel:DWORD dst_unused:UNUSED_PAD src0_sel:DWORD src1_sel:WORD_1
	v_pk_fma_f16 v79, 0xbbdd, v35, v79 op_sel:[0,0,1] op_sel_hi:[0,1,0] neg_lo:[0,0,1] neg_hi:[0,0,1]
	v_fma_f16 v114, v111, 0xb461, -v134
	v_add_f16_sdwa v107, v107, v2 dst_sel:DWORD dst_unused:UNUSED_PAD src0_sel:DWORD src1_sel:WORD_1
	v_add_f16_e32 v125, v76, v75
	v_add_f16_e32 v49, v58, v49
	v_pk_add_f16 v58, v79, v2
	v_mul_f16_sdwa v75, v57, v46 dst_sel:DWORD dst_unused:UNUSED_PAD src0_sel:WORD_1 src1_sel:DWORD
	v_pk_fma_f16 v79, 0x3b76, v36, v92 op_sel:[0,0,1] op_sel_hi:[0,1,0] neg_lo:[0,0,1] neg_hi:[0,0,1]
	v_lshrrev_b32_e32 v123, 16, v38
	v_mul_f16_e32 v92, 0xba62, v57
	v_add_f16_e32 v124, v114, v98
	v_add_f16_e32 v121, v121, v107
	v_mul_f16_e32 v76, 0xbb29, v57
	v_fmamk_f16 v107, v38, 0x3722, v75
	v_mul_f16_e32 v98, 0x31e1, v57
	v_fma_f16 v114, v123, 0xb8d2, -v92
	v_pk_add_f16 v58, v79, v58
	v_fma_f16 v79, v123, 0x3722, -v76
	v_add_f16_e32 v126, v107, v99
	v_fma_f16 v99, v123, 0xbbdd, -v98
	v_mul_f16_sdwa v107, v57, v59 dst_sel:DWORD dst_unused:UNUSED_PAD src0_sel:WORD_1 src1_sel:DWORD
	v_add_f16_e32 v106, v114, v106
	v_mul_f16_e32 v114, 0x3bb2, v57
	v_add_f16_e32 v59, v79, v104
	v_add_f16_e32 v109, v99, v109
	v_fmamk_f16 v79, v38, 0xb461, v107
	v_mul_f16_e32 v127, 0x3964, v57
	v_mul_f16_e32 v141, 0xb5c8, v57
	v_fma_f16 v99, v123, 0xb461, -v114
	v_mul_f16_e32 v57, 0xbbf7, v57
	v_add_f16_e32 v128, v79, v115
	v_fma_f16 v79, v123, 0x39e9, -v127
	v_fma_f16 v104, v123, 0x3b76, -v141
	v_add_f16_e32 v122, v99, v122
	v_fmamk_f16 v99, v123, 0x2de8, v57
	v_fma_f16 v57, v123, 0x2de8, -v57
	v_add_f16_e32 v119, v79, v119
	v_add_f16_e32 v129, v80, v125
	v_mul_f16_sdwa v79, v55, v48 dst_sel:DWORD dst_unused:UNUSED_PAD src0_sel:WORD_1 src1_sel:DWORD
	v_add_f16_e32 v131, v99, v121
	v_pk_fma_f16 v48, 0xbacd, v38, v96 op_sel:[0,0,1] op_sel_hi:[0,1,0] neg_lo:[0,0,1] neg_hi:[0,0,1]
	v_lshrrev_b32_e32 v125, 16, v39
	v_mul_f16_e32 v80, 0xbbf7, v55
	v_mul_f16_e32 v99, 0xb1e1, v55
	v_add_f16_e32 v124, v104, v124
	v_add_f16_e32 v49, v57, v49
	v_fmamk_f16 v57, v39, 0x2de8, v79
	v_mul_f16_e32 v104, 0x3bb2, v55
	v_pk_add_f16 v48, v48, v58
	v_fma_f16 v58, v125, 0x2de8, -v80
	v_fma_f16 v96, v125, 0xbbdd, -v99
	v_mul_f16_sdwa v115, v55, v91 dst_sel:DWORD dst_unused:UNUSED_PAD src0_sel:WORD_1 src1_sel:DWORD
	v_mul_f16_e32 v121, 0x35c8, v55
	v_add_f16_e32 v57, v57, v126
	v_fma_f16 v126, v125, 0xb461, -v104
	v_add_f16_e32 v58, v58, v59
	v_add_f16_e32 v59, v96, v106
	v_fmamk_f16 v91, v39, 0x3b76, v115
	v_mul_f16_e32 v136, 0xbb29, v55
	v_mul_f16_e32 v145, 0xb836, v55
	v_fma_f16 v106, v125, 0x3b76, -v121
	v_mul_f16_e32 v55, 0x3a62, v55
	v_add_f16_e32 v96, v126, v109
	v_add_f16_e32 v126, v91, v128
	v_fma_f16 v91, v125, 0x3722, -v136
	v_add_f16_e32 v128, v106, v122
	v_fmamk_f16 v106, v125, 0xb8d2, v55
	v_fma_f16 v55, v125, 0xb8d2, -v55
	v_fma_f16 v109, v125, 0xbacd, -v145
	v_add_f16_e32 v119, v91, v119
	v_add_f16_e32 v97, v97, v129
	;; [unrolled: 1-line block ×4, first 2 shown]
	v_mul_f16_sdwa v89, v53, v89 dst_sel:DWORD dst_unused:UNUSED_PAD src0_sel:WORD_1 src1_sel:DWORD
	v_pk_fma_f16 v55, 0x39e9, v39, v103 op_sel:[0,0,1] op_sel_hi:[0,1,0] neg_lo:[0,0,1] neg_hi:[0,0,1]
	v_lshrrev_b32_e32 v129, 16, v40
	v_mul_f16_e32 v91, 0xbbb2, v53
	v_mul_f16_e32 v106, 0x3836, v53
	v_add_f16_e32 v133, v109, v124
	v_fmamk_f16 v103, v40, 0xb461, v89
	v_mul_f16_e32 v109, 0x3964, v53
	v_pk_add_f16 v48, v55, v48
	v_fma_f16 v55, v129, 0xb461, -v91
	v_fma_f16 v124, v129, 0xbacd, -v106
	v_add_f16_e32 v57, v103, v57
	v_fma_f16 v103, v129, 0x39e9, -v109
	v_mul_f16_sdwa v122, v53, v46 dst_sel:DWORD dst_unused:UNUSED_PAD src0_sel:WORD_1 src1_sel:DWORD
	v_add_f16_e32 v46, v55, v58
	v_add_f16_e32 v55, v124, v59
	v_mul_f16_e32 v124, 0xbb29, v53
	v_add_f16_e32 v58, v103, v96
	v_fmamk_f16 v59, v40, 0x3722, v122
	v_mul_f16_e32 v140, 0xb1e1, v53
	v_mul_f16_e32 v147, 0x3bf7, v53
	v_fma_f16 v96, v129, 0x3722, -v124
	v_mul_f16_e32 v53, 0xb5c8, v53
	v_add_f16_e32 v59, v59, v126
	v_fma_f16 v103, v129, 0xbbdd, -v140
	v_fma_f16 v126, v129, 0x2de8, -v147
	v_add_f16_e32 v137, v96, v128
	v_fmamk_f16 v96, v129, 0x3b76, v53
	v_fma_f16 v53, v129, 0x3b76, -v53
	v_lshrrev_b32_e32 v135, 16, v52
	v_add_f16_e32 v126, v126, v133
	v_add_f16_e32 v133, v105, v97
	;; [unrolled: 1-line block ×3, first 2 shown]
	v_mul_f16_sdwa v96, v61, v45 dst_sel:DWORD dst_unused:UNUSED_PAD src0_sel:WORD_1 src1_sel:DWORD
	v_mul_f16_e32 v105, 0x3bb2, v61
	v_add_f16_e32 v103, v103, v119
	v_add_f16_e32 v49, v53, v49
	v_mul_f16_e32 v97, 0xba62, v61
	v_pk_fma_f16 v45, 0xb8d2, v40, v112 op_sel:[0,0,1] op_sel_hi:[0,1,0] neg_lo:[0,0,1] neg_hi:[0,0,1]
	v_fmamk_f16 v53, v52, 0xb8d2, v96
	v_mul_f16_e32 v119, 0xb5c8, v61
	v_fma_f16 v128, v135, 0xb461, -v105
	v_fma_f16 v112, v135, 0xb8d2, -v97
	v_pk_add_f16 v45, v45, v48
	v_add_f16_e32 v48, v53, v57
	v_fma_f16 v53, v135, 0x3b76, -v119
	v_add_f16_e32 v55, v128, v55
	v_mul_f16_sdwa v128, v61, v101 dst_sel:DWORD dst_unused:UNUSED_PAD src0_sel:WORD_1 src1_sel:DWORD
	v_mul_f16_e32 v131, 0xb836, v61
	v_mul_f16_e32 v144, 0x3bf7, v61
	v_add_f16_e32 v46, v112, v46
	v_add_f16_e32 v53, v53, v58
	v_mul_f16_e32 v149, 0xb964, v61
	v_fmamk_f16 v57, v52, 0xbacd, v128
	v_fma_f16 v58, v135, 0xbacd, -v131
	v_mul_f16_e32 v61, 0xb1e1, v61
	v_fma_f16 v112, v135, 0x2de8, -v144
	v_fma_f16 v142, v135, 0x39e9, -v149
	v_add_f16_e32 v57, v57, v59
	v_add_f16_e32 v58, v58, v137
	v_fmamk_f16 v59, v135, 0xbbdd, v61
	v_add_f16_e32 v112, v112, v103
	v_fma_f16 v61, v135, 0xbbdd, -v61
	v_mul_f16_sdwa v101, v60, v101 dst_sel:DWORD dst_unused:UNUSED_PAD src0_sel:WORD_1 src1_sel:DWORD
	v_lshrrev_b32_e32 v137, 16, v56
	v_mul_f16_e32 v103, 0xb836, v60
	v_add_f16_e32 v142, v142, v126
	v_add_f16_e32 v120, v120, v133
	;; [unrolled: 1-line block ×4, first 2 shown]
	v_pk_fma_f16 v61, 0x3722, v52, v113 op_sel:[0,0,1] op_sel_hi:[0,1,0] neg_lo:[0,0,1] neg_hi:[0,0,1]
	v_mul_f16_e32 v113, 0x3b29, v60
	v_fmamk_f16 v133, v56, 0xbacd, v101
	v_fma_f16 v138, v137, 0xbacd, -v103
	v_mul_f16_e32 v126, 0xbbf7, v60
	v_pk_add_f16 v45, v61, v45
	v_fma_f16 v61, v137, 0x3722, -v113
	v_add_f16_e32 v48, v133, v48
	v_add_f16_e32 v148, v138, v46
	v_fma_f16 v46, v137, 0x2de8, -v126
	v_mul_f16_sdwa v133, v60, v108 dst_sel:DWORD dst_unused:UNUSED_PAD src0_sel:WORD_1 src1_sel:DWORD
	v_mul_f16_e32 v138, 0x3a62, v60
	v_mul_f16_e32 v146, 0xb5c8, v60
	v_add_f16_e32 v55, v61, v55
	v_add_f16_e32 v53, v46, v53
	v_fmamk_f16 v46, v56, 0xb8d2, v133
	v_mul_f16_e32 v150, 0xb1e1, v60
	v_fma_f16 v61, v137, 0xb8d2, -v138
	v_fma_f16 v108, v137, 0x3b76, -v146
	v_mul_f16_e32 v60, 0x3964, v60
	v_add_f16_e32 v57, v46, v57
	v_fma_f16 v46, v137, 0xbbdd, -v150
	v_add_f16_e32 v58, v61, v58
	v_add_f16_e32 v61, v108, v112
	v_fmamk_f16 v112, v137, 0x39e9, v60
	v_fma_f16 v60, v137, 0x39e9, -v60
	v_mul_f16_sdwa v108, v110, v27 dst_sel:DWORD dst_unused:UNUSED_PAD src0_sel:WORD_1 src1_sel:DWORD
	v_add_f16_e32 v154, v46, v142
	v_add_f16_e32 v27, v139, v120
	v_add_f16_e32 v155, v112, v59
	v_add_f16_e32 v60, v60, v49
	v_pk_fma_f16 v46, 0xb461, v56, v132 op_sel:[0,0,1] op_sel_hi:[0,1,0] neg_lo:[0,0,1] neg_hi:[0,0,1]
	v_fmamk_f16 v49, v62, 0xbbdd, v108
	v_lshrrev_b32_e32 v143, 16, v62
	v_mul_f16_e32 v112, 0xb1e1, v110
	v_mul_f16_e32 v120, 0x35c8, v110
	;; [unrolled: 1-line block ×3, first 2 shown]
	v_pk_add_f16 v45, v46, v45
	v_add_f16_e32 v46, v49, v48
	v_fma_f16 v48, v143, 0xbbdd, -v112
	v_fma_f16 v49, v143, 0x3b76, -v120
	;; [unrolled: 1-line block ×3, first 2 shown]
	v_mul_f16_sdwa v139, v110, v47 dst_sel:DWORD dst_unused:UNUSED_PAD src0_sel:WORD_1 src1_sel:DWORD
	v_mul_f16_e32 v142, 0x3964, v110
	s_clause 0x1
	s_load_dwordx2 s[6:7], s[4:5], 0x20
	s_load_dwordx2 s[2:3], s[4:5], 0x8
	v_add_f16_e32 v47, v48, v148
	v_add_f16_e32 v48, v49, v55
	;; [unrolled: 1-line block ×3, first 2 shown]
	v_fmamk_f16 v53, v62, 0x39e9, v139
	v_fma_f16 v59, v143, 0x39e9, -v142
	v_mul_f16_e32 v148, 0xba62, v110
	v_mul_f16_e32 v151, 0x3b29, v110
	;; [unrolled: 1-line block ×3, first 2 shown]
	v_add_f16_e32 v55, v53, v57
	v_add_f16_e32 v57, v59, v58
	v_fma_f16 v53, v143, 0xb8d2, -v148
	v_fma_f16 v59, v143, 0x3722, -v151
	v_fmamk_f16 v156, v143, 0xb461, v110
	v_fma_f16 v110, v143, 0xb461, -v110
	v_pk_fma_f16 v153, 0x2de8, v62, v153 op_sel:[0,0,1] op_sel_hi:[0,1,0] neg_lo:[0,0,1] neg_hi:[0,0,1]
	v_add_f16_e32 v58, v53, v61
	v_add_f16_e32 v59, v59, v154
	v_add_f16_e32 v53, v156, v155
	v_add_f16_e32 v60, v110, v60
	v_pk_add_f16 v61, v153, v45
	v_add_f16_e32 v27, v152, v27
	v_mul_lo_u16 v45, v44, 17
	s_waitcnt lgkmcnt(0)
	s_barrier
	buffer_gl0_inv
	s_and_saveexec_b32 s0, vcc_lo
	s_cbranch_execz .LBB0_7
; %bb.6:
	v_mul_f16_e32 v110, 0xb8d2, v117
	v_mul_f16_e32 v152, 0xb461, v111
	;; [unrolled: 1-line block ×5, first 2 shown]
	v_add_f16_e32 v110, v130, v110
	v_add_f16_e32 v134, v134, v152
	;; [unrolled: 1-line block ×4, first 2 shown]
	v_mul_f16_e32 v160, 0x39e9, v135
	v_add_f16_sdwa v110, v110, v2 dst_sel:DWORD dst_unused:UNUSED_PAD src0_sel:DWORD src1_sel:WORD_1
	v_add_f16_e32 v147, v147, v159
	v_mul_f16_e32 v154, 0x3b76, v117
	v_mul_f16_e32 v156, 0x39e9, v117
	v_add_f16_e32 v149, v149, v160
	v_add_f16_e32 v110, v134, v110
	v_mul_f16_e32 v158, 0x3722, v117
	v_mul_f16_e32 v155, 0x2de8, v117
	;; [unrolled: 1-line block ×4, first 2 shown]
	v_add_f16_e32 v110, v141, v110
	v_mul_f16_e32 v141, 0xb8d2, v35
	v_mul_f16_e32 v130, 0x39e9, v35
	v_add_f16_e32 v116, v116, v117
	v_mul_f16_e32 v152, 0x3722, v35
	v_add_f16_e32 v110, v145, v110
	v_mul_f16_e32 v145, 0xb461, v36
	v_sub_f16_e32 v82, v141, v82
	v_mul_f16_e32 v141, 0xbbdd, v137
	v_add_f16_sdwa v116, v116, v2 dst_sel:DWORD dst_unused:UNUSED_PAD src0_sel:DWORD src1_sel:WORD_1
	v_add_f16_e32 v110, v147, v110
	v_sub_f16_e32 v84, v145, v84
	v_add_f16_e32 v82, v82, v2
	v_mul_f16_e32 v145, 0x3b76, v38
	v_add_f16_e32 v141, v150, v141
	v_add_f16_e32 v110, v149, v110
	v_mul_f16_e32 v147, 0x39e9, v111
	v_add_f16_e32 v82, v84, v82
	v_mul_f16_e32 v84, 0x3722, v143
	v_sub_f16_e32 v85, v145, v85
	v_mul_f16_e32 v145, 0xbacd, v39
	v_add_f16_e32 v110, v141, v110
	v_mul_f16_e32 v141, 0x2de8, v111
	v_add_f16_e32 v84, v151, v84
	v_add_f16_e32 v82, v85, v82
	v_sub_f16_e32 v85, v145, v86
	v_mul_f16_e32 v86, 0xb8d2, v111
	v_mul_f16_e32 v134, 0x2de8, v35
	v_add_f16_e32 v84, v84, v110
	v_mul_f16_e32 v110, 0xbbdd, v111
	v_add_f16_e32 v82, v85, v82
	v_mul_f16_e32 v85, 0x2de8, v40
	v_mul_f16_e32 v111, 0xbacd, v111
	v_mul_f16_e32 v35, 0xb461, v35
	v_mul_f16_e32 v157, 0x39e9, v36
	v_mul_f16_e32 v149, 0x2de8, v36
	v_sub_f16_e32 v81, v85, v81
	v_mul_f16_e32 v85, 0x39e9, v52
	v_add_f16_e32 v111, v118, v111
	v_mul_f16_e32 v150, 0xb8d2, v36
	v_mul_f16_e32 v145, 0xbbdd, v36
	v_add_f16_e32 v81, v81, v82
	v_mul_f16_e32 v82, 0x39e9, v123
	v_sub_f16_e32 v83, v85, v83
	v_add_f16_e32 v111, v111, v116
	v_mul_f16_e32 v116, 0xbbdd, v56
	v_mul_f16_e32 v36, 0xbacd, v36
	v_add_f16_e32 v82, v127, v82
	v_add_f16_e32 v81, v83, v81
	v_mul_f16_e32 v83, 0x3722, v125
	v_sub_f16_e32 v90, v116, v90
	v_sub_f16_e32 v35, v35, v68
	v_add_f16_e32 v82, v82, v111
	v_mul_f16_e32 v117, 0x3722, v38
	v_add_f16_e32 v83, v136, v83
	v_add_f16_e32 v81, v90, v81
	v_mul_f16_e32 v90, 0xbbdd, v129
	v_mul_f16_e32 v85, 0xb8d2, v38
	v_mul_f16_e32 v116, 0xbbdd, v38
	v_add_f16_e32 v82, v83, v82
	v_mul_f16_e32 v136, 0xb461, v38
	v_add_f16_e32 v90, v140, v90
	v_mul_f16_e32 v38, 0x39e9, v38
	v_sub_f16_e32 v36, v36, v70
	v_add_f16_e32 v35, v35, v2
	v_sub_f16_e32 v29, v152, v29
	v_add_f16_e32 v82, v90, v82
	v_mul_f16_e32 v90, 0x2de8, v135
	v_sub_f16_e32 v38, v38, v72
	v_add_f16_e32 v35, v36, v35
	v_mul_f16_e32 v68, 0x3722, v62
	v_add_f16_e32 v100, v100, v155
	v_add_f16_e32 v90, v144, v90
	v_mul_f16_e32 v144, 0x3722, v39
	v_add_f16_e32 v35, v38, v35
	v_sub_f16_e32 v94, v134, v94
	v_add_f16_e32 v29, v29, v2
	v_add_f16_e32 v82, v90, v82
	v_sub_f16_e32 v73, v144, v73
	v_mul_f16_e32 v90, 0xbbdd, v40
	v_sub_f16_e32 v31, v150, v31
	v_mul_f16_e32 v118, 0x3722, v123
	v_mul_f16_e32 v127, 0xb8d2, v123
	v_add_f16_e32 v35, v73, v35
	v_sub_f16_e32 v74, v90, v74
	v_mul_f16_e32 v111, 0xbbdd, v123
	v_mul_f16_e32 v123, 0xb461, v123
	v_sub_f16_e32 v68, v68, v93
	v_mul_f16_e32 v36, 0xb461, v39
	v_add_f16_e32 v35, v74, v35
	v_mul_f16_e32 v74, 0x2de8, v52
	v_add_f16_e32 v102, v102, v110
	v_add_f16_sdwa v100, v100, v2 dst_sel:DWORD dst_unused:UNUSED_PAD src0_sel:DWORD src1_sel:WORD_1
	v_sub_f16_e32 v95, v145, v95
	v_add_f16_e32 v94, v94, v2
	v_add_f16_e32 v29, v31, v29
	v_sub_f16_e32 v31, v116, v32
	v_pk_add_f16 v3, v3, v2
	v_mul_f16_e32 v83, 0x2de8, v39
	v_mul_f16_e32 v140, 0x2de8, v125
	;; [unrolled: 1-line block ×7, first 2 shown]
	v_add_f16_e32 v68, v68, v81
	v_mul_f16_e32 v81, 0x39e9, v40
	v_sub_f16_e32 v71, v74, v71
	v_add_f16_e32 v100, v102, v100
	v_add_f16_e32 v114, v114, v123
	;; [unrolled: 1-line block ×3, first 2 shown]
	v_sub_f16_e32 v107, v136, v107
	v_add_f16_e32 v29, v31, v29
	v_sub_f16_e32 v31, v36, v33
	v_pk_add_f16 v3, v14, v3
	v_mul_f16_e32 v144, 0xb461, v40
	v_mul_f16_e32 v73, 0xbacd, v40
	;; [unrolled: 1-line block ×4, first 2 shown]
	v_add_f16_e32 v35, v71, v35
	v_mul_f16_e32 v71, 0x3b76, v56
	v_mul_f16_e32 v123, 0x3b76, v52
	v_add_f16_e32 v100, v114, v100
	v_add_f16_e32 v121, v121, v125
	;; [unrolled: 1-line block ×3, first 2 shown]
	v_sub_f16_e32 v39, v39, v115
	v_add_f16_e32 v29, v31, v29
	v_sub_f16_e32 v31, v81, v41
	v_pk_add_f16 v3, v15, v3
	v_mul_f16_e32 v74, 0xb8d2, v52
	v_mul_f16_e32 v110, 0xb8d2, v135
	v_add_f16_e32 v148, v148, v151
	v_mul_f16_e32 v151, 0xb461, v52
	v_mul_f16_e32 v102, 0xb461, v135
	v_sub_f16_e32 v69, v71, v69
	v_mul_f16_e32 v71, 0x3b76, v135
	v_mul_f16_e32 v52, 0xbacd, v52
	;; [unrolled: 1-line block ×3, first 2 shown]
	v_add_f16_e32 v100, v121, v100
	v_mul_f16_e32 v121, 0x2de8, v56
	v_add_f16_e32 v39, v39, v94
	v_sub_f16_e32 v40, v40, v122
	v_add_f16_e32 v87, v87, v158
	v_add_f16_e32 v29, v31, v29
	v_sub_f16_e32 v31, v123, v50
	v_sub_f16_e32 v22, v130, v22
	v_pk_add_f16 v3, v12, v3
	v_mul_f16_e32 v114, 0xbacd, v56
	v_add_f16_e32 v35, v69, v35
	v_mul_f16_e32 v69, 0x3722, v56
	v_mul_f16_e32 v56, 0xb8d2, v56
	v_add_f16_e32 v131, v131, v135
	v_mul_f16_e32 v135, 0xbacd, v62
	v_add_f16_e32 v39, v40, v39
	v_sub_f16_e32 v40, v52, v128
	v_add_f16_sdwa v52, v87, v2 dst_sel:DWORD dst_unused:UNUSED_PAD src0_sel:DWORD src1_sel:WORD_1
	v_add_f16_e32 v86, v88, v86
	v_add_f16_e32 v29, v31, v29
	v_sub_f16_e32 v31, v121, v51
	v_add_f16_e32 v22, v22, v2
	v_sub_f16_e32 v14, v149, v20
	v_pk_add_f16 v3, v13, v3
	v_add_f16_e32 v39, v40, v39
	v_sub_f16_e32 v40, v56, v133
	v_add_f16_e32 v52, v86, v52
	v_add_f16_e32 v56, v98, v111
	;; [unrolled: 1-line block ×3, first 2 shown]
	v_sub_f16_e32 v20, v135, v54
	v_add_f16_e32 v14, v14, v22
	v_sub_f16_e32 v15, v85, v21
	v_pk_add_f16 v3, v10, v3
	v_add_f16_e32 v39, v40, v39
	v_add_f16_e32 v40, v56, v52
	;; [unrolled: 1-line block ×5, first 2 shown]
	v_sub_f16_e32 v15, v70, v30
	v_add_f16_e32 v22, v66, v154
	v_sub_f16_e32 v29, v153, v63
	v_pk_add_f16 v3, v11, v3
	v_add_f16_sdwa v33, v56, v2 dst_sel:DWORD dst_unused:UNUSED_PAD src0_sel:DWORD src1_sel:WORD_1
	v_add_f16_e32 v14, v15, v14
	v_add_f16_sdwa v15, v22, v2 dst_sel:DWORD dst_unused:UNUSED_PAD src0_sel:DWORD src1_sel:WORD_1
	v_add_f16_e32 v10, v65, v147
	v_add_f16_e32 v2, v29, v2
	v_sub_f16_e32 v22, v157, v64
	v_pk_add_f16 v3, v8, v3
	v_mul_f16_e32 v38, 0x3b76, v137
	v_add_f16_e32 v36, v78, v141
	v_add_f16_e32 v10, v10, v15
	;; [unrolled: 1-line block ×4, first 2 shown]
	v_sub_f16_e32 v15, v117, v75
	v_pk_add_f16 v3, v9, v3
	v_add_f16_e32 v38, v146, v38
	v_add_f16_e32 v33, v36, v33
	;; [unrolled: 1-line block ×3, first 2 shown]
	v_mul_f16_e32 v146, 0xb461, v129
	v_add_f16_e32 v10, v11, v10
	v_add_f16_e32 v11, v80, v140
	;; [unrolled: 1-line block ×3, first 2 shown]
	v_sub_f16_e32 v9, v83, v79
	v_pk_add_f16 v3, v6, v3
	v_mul_f16_e32 v90, 0xbacd, v129
	v_add_f16_e32 v38, v38, v82
	v_mul_f16_e32 v82, 0x39e9, v129
	v_add_f16_e32 v52, v104, v72
	v_add_f16_e32 v33, v36, v33
	;; [unrolled: 1-line block ×3, first 2 shown]
	v_mul_f16_e32 v129, 0x3722, v129
	v_add_f16_e32 v10, v11, v10
	v_add_f16_e32 v11, v91, v146
	;; [unrolled: 1-line block ×3, first 2 shown]
	v_sub_f16_e32 v6, v144, v89
	v_pk_add_f16 v3, v7, v3
	v_add_f16_e32 v40, v52, v40
	v_add_f16_e32 v52, v109, v82
	;; [unrolled: 1-line block ×4, first 2 shown]
	v_sub_f16_e32 v28, v73, v28
	v_add_f16_e32 v124, v124, v129
	v_mul_f16_e32 v125, 0xbacd, v137
	v_add_f16_e32 v9, v11, v10
	v_add_f16_e32 v7, v97, v110
	;; [unrolled: 1-line block ×3, first 2 shown]
	v_sub_f16_e32 v6, v74, v96
	v_pk_add_f16 v3, v4, v3
	v_mul_f16_e32 v134, 0x3722, v137
	v_mul_f16_e32 v145, 0x2de8, v137
	;; [unrolled: 1-line block ×6, first 2 shown]
	v_add_f16_e32 v40, v52, v40
	v_add_f16_e32 v52, v119, v71
	;; [unrolled: 1-line block ×5, first 2 shown]
	v_sub_f16_e32 v14, v151, v34
	v_mul_f16_e32 v137, 0xb8d2, v137
	v_add_f16_e32 v100, v124, v100
	v_mul_f16_e32 v95, 0xbbdd, v143
	v_add_f16_e32 v4, v7, v9
	v_add_f16_e32 v7, v103, v125
	;; [unrolled: 1-line block ×3, first 2 shown]
	v_sub_f16_e32 v6, v114, v101
	v_pk_add_f16 v3, v5, v3
	v_mul_f16_e32 v124, 0x3b76, v143
	v_mul_f16_e32 v115, 0xbacd, v143
	v_sub_f16_e32 v32, v62, v139
	v_add_f16_e32 v40, v52, v40
	v_add_f16_e32 v41, v126, v145
	;; [unrolled: 1-line block ×5, first 2 shown]
	v_sub_f16_e32 v10, v69, v37
	v_mul_f16_e32 v143, 0x39e9, v143
	v_sub_f16_e32 v67, v107, v67
	v_add_f16_e32 v100, v131, v100
	v_add_f16_e32 v107, v138, v137
	;; [unrolled: 1-line block ×5, first 2 shown]
	v_pk_add_f16 v0, v0, v3
	v_sub_f16_e32 v3, v129, v108
	v_add_f16_e32 v32, v32, v39
	v_add_f16_e32 v39, v41, v40
	;; [unrolled: 1-line block ×6, first 2 shown]
	v_sub_f16_e32 v6, v136, v42
	v_add_f16_e32 v35, v67, v35
	v_add_f16_e32 v67, v107, v100
	;; [unrolled: 1-line block ×4, first 2 shown]
	v_mov_b32_e32 v7, 2
	v_pk_add_f16 v0, v1, v0
	v_add_f16_e32 v1, v3, v2
	v_add_f16_e32 v21, v40, v39
	;; [unrolled: 1-line block ×6, first 2 shown]
	v_lshlrev_b32_sdwa v5, v7, v45 dst_sel:DWORD dst_unused:UNUSED_PAD src0_sel:DWORD src1_sel:WORD_0
	v_pk_add_f16 v0, v19, v0
	v_pack_b32_f16 v1, v1, v4
	v_pack_b32_f16 v4, v20, v21
	;; [unrolled: 1-line block ×6, first 2 shown]
	v_perm_b32 v8, v53, v27, 0x5040100
	ds_write2_b32 v5, v0, v1 offset1:1
	ds_write2_b32 v5, v2, v4 offset0:2 offset1:3
	ds_write2_b32 v5, v6, v3 offset0:4 offset1:5
	;; [unrolled: 1-line block ×3, first 2 shown]
	v_bfi_b32 v0, 0xffff, v25, v61
	v_bfi_b32 v1, 0xffff, v61, v25
	v_perm_b32 v2, v59, v23, 0x5040100
	v_perm_b32 v3, v60, v26, 0x5040100
	;; [unrolled: 1-line block ×7, first 2 shown]
	ds_write2_b32 v5, v1, v0 offset0:8 offset1:9
	ds_write2_b32 v5, v3, v2 offset0:10 offset1:11
	;; [unrolled: 1-line block ×4, first 2 shown]
	ds_write_b32 v5, v9 offset:64
.LBB0_7:
	s_or_b32 exec_lo, exec_lo, s0
	v_add_nc_u32_e32 v0, 0x400, v43
	v_add_nc_u32_e32 v1, 0x800, v43
	s_waitcnt lgkmcnt(0)
	s_barrier
	buffer_gl0_inv
	ds_read2_b32 v[8:9], v43 offset1:153
	ds_read2_b32 v[12:13], v0 offset0:50 offset1:203
	ds_read2_b32 v[10:11], v1 offset0:100 offset1:253
	ds_read_b32 v14, v43 offset:3672
	v_cmp_gt_u16_e64 s0, 34, v44
	v_lshrrev_b32_e32 v15, 16, v25
	s_and_saveexec_b32 s1, s0
	s_cbranch_execz .LBB0_9
; %bb.8:
	v_add_nc_u32_e32 v0, 0x100, v43
	v_add_nc_u32_e32 v1, 0x600, v43
	;; [unrolled: 1-line block ×3, first 2 shown]
	ds_read_b32 v55, v43 offset:4148
	ds_read2_b32 v[27:28], v0 offset0:55 offset1:208
	ds_read2_b32 v[25:26], v1 offset0:41 offset1:194
	;; [unrolled: 1-line block ×3, first 2 shown]
	s_waitcnt lgkmcnt(3)
	v_lshrrev_b32_e32 v57, 16, v55
	s_waitcnt lgkmcnt(2)
	v_lshrrev_b32_e32 v53, 16, v27
	v_lshrrev_b32_e32 v15, 16, v28
	s_waitcnt lgkmcnt(1)
	v_lshrrev_b32_e32 v60, 16, v26
	s_waitcnt lgkmcnt(0)
	v_lshrrev_b32_e32 v59, 16, v23
	v_lshrrev_b32_e32 v58, 16, v24
	v_bfi_b32 v61, 0xffff, v28, v25
.LBB0_9:
	s_or_b32 exec_lo, exec_lo, s1
	v_and_b32_e32 v0, 0xff, v44
	v_add_nc_u16 v1, v44, 0x77
	v_mov_b32_e32 v29, 0x77
	s_waitcnt lgkmcnt(3)
	v_lshrrev_b32_e32 v31, 16, v9
	s_waitcnt lgkmcnt(2)
	v_lshrrev_b32_e32 v32, 16, v12
	v_mul_lo_u16 v0, 0xf1, v0
	v_and_b32_e32 v2, 0xff, v1
	v_lshrrev_b32_e32 v33, 16, v13
	s_waitcnt lgkmcnt(1)
	v_lshrrev_b32_e32 v34, 16, v10
	v_lshrrev_b32_e32 v35, 16, v11
	v_lshrrev_b16 v28, 12, v0
	s_waitcnt lgkmcnt(0)
	v_lshrrev_b32_e32 v36, 16, v14
	v_lshrrev_b32_e32 v37, 16, v61
	v_mul_lo_u16 v0, v28, 17
	v_mul_u32_u24_sdwa v28, v28, v29 dst_sel:DWORD dst_unused:UNUSED_PAD src0_sel:WORD_0 src1_sel:DWORD
	v_sub_nc_u16 v0, v44, v0
	v_and_b32_e32 v30, 0xff, v0
	v_mul_lo_u16 v0, 0xf1, v2
	v_mul_u32_u24_e32 v2, 6, v30
	v_lshrrev_b16 v50, 12, v0
	v_add_lshl_u32 v52, v28, v30, 2
	v_lshlrev_b32_e32 v0, 2, v2
	v_mul_lo_u16 v2, v50, 17
	s_clause 0x1
	global_load_dwordx4 v[4:7], v0, s[2:3]
	global_load_dwordx2 v[21:22], v0, s[2:3] offset:16
	v_sub_nc_u16 v1, v1, v2
	v_and_b32_e32 v51, 0xff, v1
	v_mul_u32_u24_e32 v0, 6, v51
	v_lshlrev_b32_e32 v19, 2, v0
	s_clause 0x1
	global_load_dwordx4 v[0:3], v19, s[2:3]
	global_load_dwordx2 v[19:20], v19, s[2:3] offset:16
	s_load_dwordx4 s[4:7], s[6:7], 0x0
	s_waitcnt vmcnt(0) lgkmcnt(0)
	s_barrier
	buffer_gl0_inv
	v_mul_f16_sdwa v28, v31, v4 dst_sel:DWORD dst_unused:UNUSED_PAD src0_sel:DWORD src1_sel:WORD_1
	v_mul_f16_sdwa v30, v9, v4 dst_sel:DWORD dst_unused:UNUSED_PAD src0_sel:DWORD src1_sel:WORD_1
	;; [unrolled: 1-line block ×12, first 2 shown]
	v_fma_f16 v9, v9, v4, -v28
	v_fmac_f16_e32 v30, v31, v4
	v_fma_f16 v12, v12, v5, -v38
	v_fmac_f16_e32 v39, v32, v5
	v_fma_f16 v13, v13, v6, -v40
	v_fmac_f16_e32 v41, v33, v6
	v_fma_f16 v10, v10, v7, -v42
	v_fmac_f16_e32 v54, v34, v7
	v_fma_f16 v11, v11, v21, -v56
	v_fmac_f16_e32 v62, v35, v21
	v_fma_f16 v14, v14, v22, -v63
	v_fmac_f16_e32 v64, v36, v22
	v_mul_f16_sdwa v28, v15, v0 dst_sel:DWORD dst_unused:UNUSED_PAD src0_sel:DWORD src1_sel:WORD_1
	v_mul_f16_sdwa v31, v61, v0 dst_sel:DWORD dst_unused:UNUSED_PAD src0_sel:DWORD src1_sel:WORD_1
	;; [unrolled: 1-line block ×12, first 2 shown]
	v_fma_f16 v28, v61, v0, -v28
	v_fmac_f16_e32 v31, v15, v0
	v_fma_f16 v15, v25, v1, -v32
	v_fmac_f16_e32 v33, v37, v1
	v_fma_f16 v25, v26, v2, -v34
	v_fma_f16 v23, v23, v3, -v36
	v_fma_f16 v24, v24, v19, -v40
	v_fmac_f16_e32 v42, v58, v19
	v_fma_f16 v26, v55, v20, -v56
	v_fmac_f16_e32 v63, v57, v20
	v_add_f16_e32 v32, v9, v14
	v_add_f16_e32 v34, v30, v64
	v_sub_f16_e32 v9, v9, v14
	v_sub_f16_e32 v14, v30, v64
	v_add_f16_e32 v30, v12, v11
	v_add_f16_e32 v36, v39, v62
	v_sub_f16_e32 v11, v12, v11
	v_sub_f16_e32 v12, v39, v62
	v_add_f16_e32 v37, v13, v10
	v_add_f16_e32 v39, v41, v54
	v_sub_f16_e32 v10, v10, v13
	v_sub_f16_e32 v13, v54, v41
	v_fmac_f16_e32 v35, v60, v2
	v_fmac_f16_e32 v38, v59, v3
	v_add_f16_e32 v40, v30, v32
	v_add_f16_e32 v41, v36, v34
	v_sub_f16_e32 v54, v30, v32
	v_sub_f16_e32 v55, v36, v34
	;; [unrolled: 1-line block ×6, first 2 shown]
	v_add_f16_e32 v56, v10, v11
	v_sub_f16_e32 v58, v10, v11
	v_sub_f16_e32 v59, v13, v12
	;; [unrolled: 1-line block ×3, first 2 shown]
	v_add_f16_e32 v60, v28, v26
	v_add_f16_e32 v61, v31, v63
	v_sub_f16_e32 v26, v28, v26
	v_sub_f16_e32 v28, v31, v63
	v_add_f16_e32 v31, v15, v24
	v_add_f16_e32 v62, v33, v42
	;; [unrolled: 1-line block ×3, first 2 shown]
	v_sub_f16_e32 v10, v9, v10
	v_sub_f16_e32 v13, v14, v13
	;; [unrolled: 1-line block ×5, first 2 shown]
	v_add_f16_e32 v33, v25, v23
	v_add_f16_e32 v42, v35, v38
	v_sub_f16_e32 v23, v23, v25
	v_sub_f16_e32 v25, v38, v35
	v_add_f16_e32 v35, v37, v40
	v_add_f16_e32 v37, v39, v41
	;; [unrolled: 1-line block ×3, first 2 shown]
	v_mul_f16_e32 v32, 0x3a52, v32
	v_mul_f16_e32 v34, 0x3a52, v34
	;; [unrolled: 1-line block ×7, first 2 shown]
	v_add_f16_e32 v58, v31, v60
	v_add_f16_e32 v59, v62, v61
	;; [unrolled: 1-line block ×3, first 2 shown]
	v_mul_f16_e32 v57, 0x3b00, v12
	v_sub_f16_e32 v63, v31, v60
	v_sub_f16_e32 v64, v62, v61
	;; [unrolled: 1-line block ×6, first 2 shown]
	v_add_f16_e32 v65, v23, v15
	v_add_f16_e32 v66, v25, v24
	v_sub_f16_e32 v67, v23, v15
	v_sub_f16_e32 v68, v25, v24
	;; [unrolled: 1-line block ×4, first 2 shown]
	v_add_f16_e32 v69, v8, v35
	v_add_f16_sdwa v70, v8, v37 dst_sel:DWORD dst_unused:UNUSED_PAD src0_sel:WORD_1 src1_sel:DWORD
	v_fmamk_f16 v30, v30, 0x2b26, v32
	v_fmamk_f16 v36, v36, 0x2b26, v34
	v_fma_f16 v38, v54, 0x39e0, -v38
	v_fma_f16 v39, v55, 0x39e0, -v39
	;; [unrolled: 1-line block ×4, first 2 shown]
	v_fmamk_f16 v54, v10, 0x3574, v40
	v_fmamk_f16 v55, v13, 0x3574, v41
	v_fma_f16 v40, v11, 0x3b00, -v40
	v_fma_f16 v12, v12, 0x3b00, -v41
	;; [unrolled: 1-line block ×3, first 2 shown]
	v_add_f16_e32 v33, v33, v58
	v_add_f16_e32 v42, v42, v59
	v_sub_f16_e32 v23, v26, v23
	v_sub_f16_e32 v25, v28, v25
	v_fma_f16 v13, v13, 0xb574, -v57
	v_mul_f16_e32 v10, 0x3a52, v60
	v_mul_f16_e32 v11, 0x3a52, v61
	;; [unrolled: 1-line block ×8, first 2 shown]
	v_fmamk_f16 v35, v35, 0xbcab, v69
	v_fmamk_f16 v37, v37, 0xbcab, v70
	v_fmac_f16_e32 v54, 0x370e, v9
	v_fmac_f16_e32 v40, 0x370e, v9
	;; [unrolled: 1-line block ×3, first 2 shown]
	v_add_f16_e32 v8, v27, v33
	v_add_f16_e32 v9, v53, v42
	;; [unrolled: 1-line block ×4, first 2 shown]
	v_fmac_f16_e32 v55, 0x370e, v14
	v_fmac_f16_e32 v12, 0x370e, v14
	;; [unrolled: 1-line block ×3, first 2 shown]
	v_fmamk_f16 v14, v31, 0x2b26, v10
	v_fmamk_f16 v27, v62, 0x2b26, v11
	v_fma_f16 v31, v63, 0x39e0, -v56
	v_fma_f16 v53, v64, 0x39e0, -v57
	;; [unrolled: 1-line block ×4, first 2 shown]
	v_fmamk_f16 v11, v23, 0x3574, v58
	v_fmamk_f16 v10, v25, 0x3574, v59
	v_fma_f16 v15, v15, 0x3b00, -v58
	v_fma_f16 v24, v24, 0x3b00, -v59
	;; [unrolled: 1-line block ×4, first 2 shown]
	v_add_f16_e32 v30, v30, v35
	v_add_f16_e32 v36, v36, v37
	;; [unrolled: 1-line block ×5, first 2 shown]
	v_fmamk_f16 v33, v33, 0xbcab, v8
	v_fmamk_f16 v35, v42, 0xbcab, v9
	v_add_f16_e32 v34, v34, v37
	v_fmac_f16_e32 v11, 0x370e, v26
	v_fmac_f16_e32 v10, 0x370e, v28
	;; [unrolled: 1-line block ×6, first 2 shown]
	v_add_f16_e32 v37, v55, v30
	v_sub_f16_e32 v42, v36, v54
	v_add_f16_e32 v59, v13, v32
	v_sub_f16_e32 v61, v38, v12
	v_add_f16_e32 v62, v40, v39
	v_add_f16_e32 v38, v12, v38
	v_sub_f16_e32 v39, v39, v40
	v_sub_f16_e32 v32, v32, v13
	v_add_f16_e32 v12, v14, v33
	v_add_f16_e32 v14, v56, v33
	;; [unrolled: 1-line block ×6, first 2 shown]
	v_sub_f16_e32 v60, v34, v41
	v_add_f16_e32 v34, v41, v34
	v_sub_f16_e32 v30, v30, v55
	v_add_f16_e32 v36, v54, v36
	v_pack_b32_f16 v25, v69, v70
	v_add_f16_e32 v26, v23, v14
	v_sub_f16_e32 v56, v40, v58
	v_sub_f16_e32 v27, v28, v24
	v_add_f16_e32 v55, v15, v31
	v_add_f16_e32 v28, v24, v28
	v_sub_f16_e32 v54, v31, v15
	v_sub_f16_e32 v23, v14, v23
	v_add_f16_e32 v53, v58, v40
	v_sub_f16_e32 v24, v12, v10
	v_pack_b32_f16 v14, v37, v42
	v_add_f16_e32 v57, v11, v13
	v_pack_b32_f16 v15, v59, v60
	v_pack_b32_f16 v31, v61, v62
	;; [unrolled: 1-line block ×5, first 2 shown]
	ds_write2_b32 v52, v25, v14 offset1:17
	ds_write2_b32 v52, v15, v31 offset0:34 offset1:51
	ds_write2_b32 v52, v33, v32 offset0:68 offset1:85
	ds_write_b32 v52, v30 offset:408
	s_and_saveexec_b32 s1, s0
	s_cbranch_execz .LBB0_11
; %bb.10:
	v_sub_f16_e32 v11, v13, v11
	v_mul_u32_u24_sdwa v13, v50, v29 dst_sel:DWORD dst_unused:UNUSED_PAD src0_sel:WORD_0 src1_sel:DWORD
	v_add_f16_e32 v10, v10, v12
	v_perm_b32 v8, v9, v8, 0x5040100
	v_perm_b32 v12, v55, v27, 0x5040100
	;; [unrolled: 1-line block ×3, first 2 shown]
	v_add_lshl_u32 v9, v13, v51, 2
	v_pack_b32_f16 v10, v10, v11
	v_perm_b32 v11, v56, v26, 0x5040100
	v_perm_b32 v13, v54, v28, 0x5040100
	;; [unrolled: 1-line block ×3, first 2 shown]
	ds_write2_b32 v9, v8, v10 offset1:17
	ds_write2_b32 v9, v11, v12 offset0:34 offset1:51
	ds_write2_b32 v9, v13, v14 offset0:68 offset1:85
	ds_write_b32 v9, v15 offset:408
.LBB0_11:
	s_or_b32 exec_lo, exec_lo, s1
	v_lshlrev_b32_e32 v8, 5, v44
	s_waitcnt lgkmcnt(0)
	s_barrier
	buffer_gl0_inv
	v_add_nc_u32_e32 v37, 0x400, v43
	s_clause 0x1
	global_load_dwordx4 v[12:15], v8, s[2:3] offset:408
	global_load_dwordx4 v[8:11], v8, s[2:3] offset:424
	v_add_nc_u32_e32 v38, 0x800, v43
	v_add_nc_u32_e32 v39, 0xc00, v43
	ds_read_b32 v40, v43
	ds_read2_b32 v[29:30], v43 offset0:119 offset1:238
	ds_read2_b32 v[31:32], v37 offset0:101 offset1:220
	;; [unrolled: 1-line block ×4, first 2 shown]
	v_add_nc_u32_e32 v41, 0x200, v43
	v_add_nc_u32_e32 v67, 0xa00, v43
	;; [unrolled: 1-line block ×3, first 2 shown]
	s_waitcnt lgkmcnt(2)
	v_lshrrev_b32_e32 v59, 16, v31
	v_lshrrev_b32_e32 v25, 16, v29
	;; [unrolled: 1-line block ×4, first 2 shown]
	s_waitcnt lgkmcnt(1)
	v_lshrrev_b32_e32 v61, 16, v33
	v_lshrrev_b32_e32 v62, 16, v34
	s_waitcnt lgkmcnt(0)
	v_lshrrev_b32_e32 v63, 16, v35
	v_lshrrev_b32_e32 v64, 16, v36
	v_lshrrev_b32_e32 v65, 16, v40
	s_waitcnt vmcnt(1)
	v_mul_f16_sdwa v66, v25, v12 dst_sel:DWORD dst_unused:UNUSED_PAD src0_sel:DWORD src1_sel:WORD_1
	v_mul_f16_sdwa v68, v29, v12 dst_sel:DWORD dst_unused:UNUSED_PAD src0_sel:DWORD src1_sel:WORD_1
	;; [unrolled: 1-line block ×6, first 2 shown]
	s_waitcnt vmcnt(0)
	v_mul_f16_sdwa v75, v61, v8 dst_sel:DWORD dst_unused:UNUSED_PAD src0_sel:DWORD src1_sel:WORD_1
	v_mul_f16_sdwa v77, v62, v9 dst_sel:DWORD dst_unused:UNUSED_PAD src0_sel:DWORD src1_sel:WORD_1
	;; [unrolled: 1-line block ×10, first 2 shown]
	v_fma_f16 v29, v29, v12, -v66
	v_fmac_f16_e32 v68, v25, v12
	v_fma_f16 v25, v30, v13, -v69
	v_fmac_f16_e32 v70, v58, v13
	v_fma_f16 v30, v31, v14, -v71
	v_fma_f16 v31, v32, v15, -v73
	v_fma_f16 v33, v33, v8, -v75
	v_fma_f16 v32, v34, v9, -v77
	v_fma_f16 v34, v36, v11, -v81
	v_fmac_f16_e32 v82, v64, v11
	v_fma_f16 v35, v35, v10, -v79
	v_fmac_f16_e32 v80, v63, v10
	v_fmac_f16_e32 v72, v59, v14
	;; [unrolled: 1-line block ×5, first 2 shown]
	v_add_f16_e32 v36, v29, v34
	v_add_f16_e32 v62, v68, v82
	;; [unrolled: 1-line block ×4, first 2 shown]
	v_sub_f16_e32 v29, v29, v34
	v_sub_f16_e32 v63, v31, v33
	v_add_f16_e32 v66, v30, v32
	v_add_f16_e32 v69, v72, v78
	v_sub_f16_e32 v34, v68, v82
	v_sub_f16_e32 v25, v25, v35
	;; [unrolled: 1-line block ×3, first 2 shown]
	v_add_f16_e32 v68, v31, v33
	v_add_f16_e32 v70, v74, v76
	v_mul_f16_e32 v71, 0x3924, v29
	v_mul_f16_e32 v77, 0xb924, v63
	v_add_f16_e32 v83, v60, v36
	v_add_f16_e32 v84, v61, v62
	v_mul_f16_e32 v85, 0x3be1, v63
	v_sub_f16_e32 v30, v30, v32
	v_sub_f16_e32 v64, v74, v76
	v_fmac_f16_e32 v71, 0x3be1, v25
	v_fmac_f16_e32 v77, 0x3be1, v29
	v_add_f16_e32 v87, v68, v83
	v_add_f16_e32 v88, v70, v84
	v_fma_f16 v85, v25, 0xb924, -v85
	v_add_f16_e32 v83, v66, v83
	v_add_f16_e32 v84, v69, v84
	v_sub_f16_e32 v58, v72, v78
	v_mul_f16_e32 v72, 0x3924, v34
	v_mul_f16_e32 v78, 0xb924, v64
	v_add_f16_e32 v81, v63, v29
	v_mul_f16_e32 v86, 0x3be1, v64
	v_fmac_f16_e32 v71, 0x3aee, v30
	v_fmac_f16_e32 v77, 0xbaee, v30
	;; [unrolled: 1-line block ×3, first 2 shown]
	v_add_f16_e32 v30, v31, v83
	v_add_f16_e32 v31, v74, v84
	v_fmac_f16_e32 v72, 0x3be1, v35
	v_fmac_f16_e32 v78, 0x3be1, v34
	v_sub_f16_e32 v81, v81, v25
	v_fma_f16 v86, v35, 0xb924, -v86
	v_fmac_f16_e32 v77, 0x3579, v25
	v_add_f16_e32 v25, v33, v30
	v_add_f16_e32 v30, v76, v31
	v_fmamk_f16 v79, v68, 0x3a21, v40
	v_fmamk_f16 v80, v70, 0x3a21, v65
	;; [unrolled: 1-line block ×4, first 2 shown]
	v_add_f16_e32 v32, v66, v40
	v_add_f16_e32 v59, v69, v65
	v_fmac_f16_e32 v72, 0x3aee, v58
	v_fmac_f16_e32 v78, 0xbaee, v58
	;; [unrolled: 1-line block ×4, first 2 shown]
	v_add_f16_e32 v29, v25, v40
	v_add_f16_e32 v58, v30, v65
	v_fmac_f16_e32 v40, 0x3a21, v60
	v_fmac_f16_e32 v65, 0x3a21, v61
	;; [unrolled: 1-line block ×8, first 2 shown]
	v_add_f16_e32 v82, v64, v34
	v_fmac_f16_e32 v79, -0.5, v66
	v_fmac_f16_e32 v80, -0.5, v69
	;; [unrolled: 1-line block ×6, first 2 shown]
	v_sub_f16_e32 v82, v82, v35
	v_fmac_f16_e32 v32, -0.5, v87
	v_fmac_f16_e32 v59, -0.5, v88
	v_fmac_f16_e32 v78, 0x3579, v35
	v_fmac_f16_e32 v79, 0xbb84, v60
	;; [unrolled: 1-line block ×10, first 2 shown]
	v_mul_f16_e32 v89, 0x3aee, v81
	v_mul_f16_e32 v90, 0x3aee, v82
	v_fmac_f16_e32 v32, 0x3aee, v82
	v_fmac_f16_e32 v59, 0xbaee, v81
	v_add_f16_e32 v31, v78, v79
	v_sub_f16_e32 v63, v80, v77
	v_add_f16_e32 v30, v72, v73
	v_sub_f16_e32 v64, v75, v71
	;; [unrolled: 2-line block ×3, first 2 shown]
	v_fma_f16 v33, -2.0, v90, v32
	v_fma_f16 v61, 2.0, v89, v59
	v_fma_f16 v34, -2.0, v78, v31
	v_fma_f16 v62, 2.0, v77, v63
	v_pack_b32_f16 v69, v29, v58
	v_fma_f16 v25, -2.0, v72, v30
	v_fma_f16 v60, 2.0, v71, v64
	v_fma_f16 v36, -2.0, v86, v35
	v_fma_f16 v66, 2.0, v85, v65
	v_pack_b32_f16 v40, v30, v64
	v_pack_b32_f16 v68, v32, v59
	;; [unrolled: 1-line block ×4, first 2 shown]
	ds_write_b32 v43, v69
	v_pack_b32_f16 v69, v34, v62
	v_pack_b32_f16 v72, v25, v60
	;; [unrolled: 1-line block ×4, first 2 shown]
	ds_write_b32 v43, v40 offset:476
	ds_write2_b32 v41, v70, v68 offset0:110 offset1:229
	ds_write2_b32 v67, v71, v69 offset0:74 offset1:193
	ds_write_b32 v43, v72 offset:3808
	ds_write2_b32 v42, v73, v74 offset0:92 offset1:211
	s_waitcnt lgkmcnt(0)
	s_barrier
	buffer_gl0_inv
	s_and_saveexec_b32 s2, vcc_lo
	s_cbranch_execz .LBB0_13
; %bb.12:
	v_add_co_u32 v42, s1, s8, v43
	v_add_co_ci_u32_e64 v69, null, s9, 0, s1
	v_add_co_u32 v40, s1, 0x1000, v42
	v_add_co_ci_u32_e64 v41, s1, 0, v69, s1
	global_load_dword v70, v[40:41], off offset:188
	v_add_co_u32 v40, s1, 0x10bc, v42
	v_add_co_ci_u32_e64 v41, s1, 0, v69, s1
	v_add_co_u32 v67, s1, 0x1800, v42
	v_add_co_ci_u32_e64 v68, s1, 0, v69, s1
	s_clause 0xc
	global_load_dword v81, v[40:41], off offset:252
	global_load_dword v82, v[40:41], off offset:504
	;; [unrolled: 1-line block ×13, first 2 shown]
	v_add_co_u32 v40, s1, 0x2000, v42
	v_add_co_ci_u32_e64 v41, s1, 0, v69, s1
	s_clause 0x2
	global_load_dword v42, v[67:68], off offset:1668
	global_load_dword v94, v[67:68], off offset:1920
	;; [unrolled: 1-line block ×3, first 2 shown]
	ds_read_b32 v40, v43
	s_waitcnt lgkmcnt(0)
	v_lshrrev_b32_e32 v41, 16, v40
	s_waitcnt vmcnt(16)
	v_mul_f16_sdwa v67, v41, v70 dst_sel:DWORD dst_unused:UNUSED_PAD src0_sel:DWORD src1_sel:WORD_1
	v_mul_f16_sdwa v68, v40, v70 dst_sel:DWORD dst_unused:UNUSED_PAD src0_sel:DWORD src1_sel:WORD_1
	v_fma_f16 v40, v40, v70, -v67
	v_fmac_f16_e32 v68, v41, v70
	v_pack_b32_f16 v40, v40, v68
	ds_write_b32 v43, v40
	ds_read2_b32 v[40:41], v43 offset0:63 offset1:126
	ds_read2_b32 v[67:68], v43 offset0:189 offset1:252
	;; [unrolled: 1-line block ×8, first 2 shown]
	s_waitcnt lgkmcnt(7)
	v_lshrrev_b32_e32 v96, 16, v40
	s_waitcnt vmcnt(15)
	v_mul_f16_sdwa v97, v40, v81 dst_sel:DWORD dst_unused:UNUSED_PAD src0_sel:DWORD src1_sel:WORD_1
	v_lshrrev_b32_e32 v98, 16, v41
	s_waitcnt vmcnt(14)
	v_mul_f16_sdwa v99, v41, v82 dst_sel:DWORD dst_unused:UNUSED_PAD src0_sel:DWORD src1_sel:WORD_1
	s_waitcnt lgkmcnt(6)
	v_lshrrev_b32_e32 v100, 16, v67
	s_waitcnt vmcnt(13)
	v_mul_f16_sdwa v101, v67, v83 dst_sel:DWORD dst_unused:UNUSED_PAD src0_sel:DWORD src1_sel:WORD_1
	v_lshrrev_b32_e32 v102, 16, v68
	s_waitcnt vmcnt(12)
	v_mul_f16_sdwa v103, v68, v84 dst_sel:DWORD dst_unused:UNUSED_PAD src0_sel:DWORD src1_sel:WORD_1
	;; [unrolled: 7-line block ×7, first 2 shown]
	s_waitcnt lgkmcnt(0)
	v_lshrrev_b32_e32 v124, 16, v79
	s_waitcnt vmcnt(1)
	v_mul_f16_sdwa v125, v79, v94 dst_sel:DWORD dst_unused:UNUSED_PAD src0_sel:DWORD src1_sel:WORD_1
	v_lshrrev_b32_e32 v126, 16, v80
	v_mul_f16_sdwa v128, v96, v81 dst_sel:DWORD dst_unused:UNUSED_PAD src0_sel:DWORD src1_sel:WORD_1
	v_fmac_f16_e32 v97, v96, v81
	v_mul_f16_sdwa v96, v98, v82 dst_sel:DWORD dst_unused:UNUSED_PAD src0_sel:DWORD src1_sel:WORD_1
	v_fmac_f16_e32 v99, v98, v82
	;; [unrolled: 2-line block ×9, first 2 shown]
	v_mul_f16_sdwa v112, v114, v90 dst_sel:DWORD dst_unused:UNUSED_PAD src0_sel:DWORD src1_sel:WORD_1
	s_waitcnt vmcnt(0)
	v_mul_f16_sdwa v127, v80, v95 dst_sel:DWORD dst_unused:UNUSED_PAD src0_sel:DWORD src1_sel:WORD_1
	v_fmac_f16_e32 v115, v114, v90
	v_mul_f16_sdwa v114, v116, v91 dst_sel:DWORD dst_unused:UNUSED_PAD src0_sel:DWORD src1_sel:WORD_1
	v_fmac_f16_e32 v117, v116, v91
	;; [unrolled: 2-line block ×6, first 2 shown]
	v_mul_f16_sdwa v124, v126, v95 dst_sel:DWORD dst_unused:UNUSED_PAD src0_sel:DWORD src1_sel:WORD_1
	v_fma_f16 v40, v40, v81, -v128
	v_fma_f16 v41, v41, v82, -v96
	;; [unrolled: 1-line block ×10, first 2 shown]
	v_fmac_f16_e32 v127, v126, v95
	v_fma_f16 v75, v75, v91, -v114
	v_fma_f16 v76, v76, v92, -v116
	;; [unrolled: 1-line block ×6, first 2 shown]
	v_pack_b32_f16 v40, v40, v97
	v_pack_b32_f16 v41, v41, v99
	;; [unrolled: 1-line block ×16, first 2 shown]
	ds_write2_b32 v43, v40, v41 offset0:63 offset1:126
	ds_write2_b32 v43, v67, v68 offset0:189 offset1:252
	;; [unrolled: 1-line block ×8, first 2 shown]
.LBB0_13:
	s_or_b32 exec_lo, exec_lo, s2
	s_waitcnt lgkmcnt(0)
	s_barrier
	buffer_gl0_inv
	s_and_saveexec_b32 s1, vcc_lo
	s_cbranch_execz .LBB0_15
; %bb.14:
	v_add_nc_u32_e32 v17, 0x200, v43
	v_add_nc_u32_e32 v18, 0x400, v43
	;; [unrolled: 1-line block ×4, first 2 shown]
	ds_read2_b32 v[29:30], v43 offset1:63
	ds_read2_b32 v[35:36], v17 offset0:124 offset1:187
	v_add_nc_u32_e32 v17, 0x800, v43
	ds_read2_b32 v[33:34], v18 offset0:122 offset1:185
	v_add_nc_u32_e32 v18, 0xa00, v43
	ds_read2_b32 v[31:32], v43 offset0:126 offset1:189
	ds_read2_b32 v[25:26], v23 offset0:120 offset1:183
	;; [unrolled: 1-line block ×5, first 2 shown]
	ds_read_b32 v46, v43 offset:4032
	s_waitcnt lgkmcnt(8)
	v_lshrrev_b32_e32 v58, 16, v29
	v_lshrrev_b32_e32 v64, 16, v30
	s_waitcnt lgkmcnt(7)
	v_lshrrev_b32_e32 v65, 16, v35
	v_lshrrev_b32_e32 v66, 16, v36
	s_waitcnt lgkmcnt(6)
	v_lshrrev_b32_e32 v61, 16, v33
	s_waitcnt lgkmcnt(5)
	v_lshrrev_b32_e32 v63, 16, v31
	v_lshrrev_b32_e32 v59, 16, v32
	;; [unrolled: 1-line block ×3, first 2 shown]
	s_waitcnt lgkmcnt(4)
	v_lshrrev_b32_e32 v60, 16, v25
	v_lshrrev_b32_e32 v56, 16, v26
	s_waitcnt lgkmcnt(3)
	v_lshrrev_b32_e32 v55, 16, v27
	v_lshrrev_b32_e32 v54, 16, v28
	s_waitcnt lgkmcnt(2)
	v_lshrrev_b32_e32 v53, 16, v23
	v_lshrrev_b32_e32 v57, 16, v24
	s_waitcnt lgkmcnt(1)
	v_lshrrev_b32_e32 v49, 16, v17
	v_lshrrev_b32_e32 v48, 16, v18
	s_waitcnt lgkmcnt(0)
	v_lshrrev_b32_e32 v47, 16, v46
.LBB0_15:
	s_or_b32 exec_lo, exec_lo, s1
	v_add_f16_e32 v87, v47, v64
	v_sub_f16_e32 v68, v30, v46
	v_sub_f16_e32 v82, v64, v47
	v_add_f16_e32 v67, v46, v30
	v_sub_f16_e32 v84, v63, v48
	v_mul_f16_e32 v114, 0xb8d2, v87
	v_mul_f16_e32 v71, 0xbacd, v87
	;; [unrolled: 1-line block ×5, first 2 shown]
	v_fmamk_f16 v69, v68, 0xba62, v114
	v_mul_f16_e32 v105, 0xb1e1, v84
	v_mul_f16_e32 v102, 0x2de8, v87
	v_fma_f16 v37, v67, 0x2de8, -v100
	v_mul_f16_e32 v111, 0xba62, v82
	v_add_f16_e32 v72, v58, v69
	v_fmamk_f16 v69, v68, 0x3836, v71
	v_fma_f16 v39, v67, 0xb461, -v104
	v_add_f16_e32 v37, v29, v37
	v_fmac_f16_e32 v71, 0xb836, v68
	v_add_f16_e32 v91, v48, v63
	v_add_f16_e32 v75, v58, v69
	v_fmamk_f16 v69, v67, 0xbbdd, v73
	v_mul_f16_e32 v112, 0x3836, v84
	v_mul_f16_e32 v107, 0xb461, v87
	v_fmamk_f16 v38, v68, 0xbbf7, v102
	v_mul_f16_e32 v40, 0xb836, v82
	v_add_f16_e32 v78, v29, v69
	v_add_f16_e32 v69, v18, v31
	;; [unrolled: 1-line block ×3, first 2 shown]
	v_fma_f16 v42, v67, 0xb8d2, -v111
	v_add_f16_e32 v77, v58, v71
	v_fma_f16 v73, v67, 0xbbdd, -v73
	v_fma_f16 v79, v69, 0xbbdd, -v105
	v_sub_f16_e32 v71, v31, v18
	v_mul_f16_e32 v108, 0xbbdd, v91
	v_mul_f16_e32 v119, 0x3bb2, v84
	v_add_f16_e32 v38, v58, v38
	v_add_f16_e32 v37, v79, v37
	v_fma_f16 v79, v69, 0xbacd, -v112
	v_fmamk_f16 v41, v68, 0xbbb2, v107
	v_fmamk_f16 v70, v67, 0xbacd, v40
	v_add_f16_e32 v42, v29, v42
	v_fma_f16 v40, v67, 0xbacd, -v40
	v_add_f16_e32 v80, v29, v73
	v_fmamk_f16 v73, v71, 0xb1e1, v108
	v_mul_f16_e32 v116, 0xbacd, v91
	v_add_f16_e32 v39, v79, v39
	v_fma_f16 v79, v69, 0xb461, -v119
	v_mul_f16_e32 v81, 0x3b29, v84
	v_add_f16_e32 v41, v58, v41
	v_add_f16_e32 v70, v29, v70
	v_mul_f16_e32 v74, 0xbbdd, v87
	v_add_f16_e32 v40, v29, v40
	v_add_f16_e32 v38, v73, v38
	v_mul_f16_e32 v123, 0xb461, v91
	v_fmamk_f16 v73, v71, 0x3836, v116
	v_add_f16_e32 v42, v79, v42
	v_fmamk_f16 v79, v69, 0x3722, v81
	v_mul_f16_e32 v85, 0x35c8, v84
	v_fma_f16 v81, v69, 0x3722, -v81
	v_fmamk_f16 v76, v68, 0x31e1, v74
	v_fmamk_f16 v83, v71, 0x3bb2, v123
	v_add_f16_e32 v41, v73, v41
	v_mul_f16_e32 v73, 0x3722, v91
	v_add_f16_e32 v70, v79, v70
	v_fmamk_f16 v79, v69, 0x3b76, v85
	v_add_f16_e32 v40, v81, v40
	v_mul_f16_e32 v81, 0x3b76, v91
	v_add_f16_e32 v76, v58, v76
	v_add_f16_e32 v83, v83, v72
	v_fmamk_f16 v72, v71, 0xbb29, v73
	v_fmac_f16_e32 v73, 0x3b29, v71
	v_add_f16_e32 v78, v79, v78
	v_sub_f16_e32 v89, v59, v49
	v_add_f16_e32 v95, v49, v59
	v_fmamk_f16 v79, v71, 0xb5c8, v81
	v_add_f16_e32 v75, v72, v75
	v_add_f16_e32 v77, v73, v77
	;; [unrolled: 1-line block ×3, first 2 shown]
	v_sub_f16_e32 v73, v32, v17
	v_mul_f16_e32 v113, 0x3bb2, v89
	v_mul_f16_e32 v115, 0xb461, v95
	v_add_f16_e32 v76, v79, v76
	v_fma_f16 v79, v69, 0x3b76, -v85
	v_mul_f16_e32 v120, 0x3964, v89
	v_fmac_f16_e32 v74, 0xb1e1, v68
	v_fma_f16 v85, v72, 0xb461, -v113
	v_fmamk_f16 v86, v73, 0x3bb2, v115
	v_add_f16_e32 v79, v79, v80
	v_fma_f16 v80, v72, 0x39e9, -v120
	v_mul_f16_e32 v124, 0x39e9, v95
	v_mul_f16_e32 v127, 0xb5c8, v89
	;; [unrolled: 1-line block ×3, first 2 shown]
	v_add_f16_e32 v74, v58, v74
	v_fmac_f16_e32 v81, 0x35c8, v71
	v_add_f16_e32 v37, v85, v37
	v_add_f16_e32 v38, v86, v38
	;; [unrolled: 1-line block ×3, first 2 shown]
	v_fmamk_f16 v80, v73, 0x3964, v124
	v_fma_f16 v85, v72, 0x3b76, -v127
	v_fmamk_f16 v86, v73, 0xb5c8, v130
	v_mul_f16_e32 v90, 0x2de8, v95
	v_add_f16_e32 v74, v81, v74
	v_mul_f16_e32 v81, 0xbbf7, v89
	v_add_f16_e32 v41, v80, v41
	v_add_f16_e32 v42, v85, v42
	;; [unrolled: 1-line block ×3, first 2 shown]
	v_fmamk_f16 v83, v73, 0x3bf7, v90
	v_mul_f16_e32 v85, 0xb836, v89
	v_fmamk_f16 v88, v72, 0x2de8, v81
	v_mul_f16_e32 v86, 0xbacd, v95
	v_fma_f16 v81, v72, 0x2de8, -v81
	v_add_f16_e32 v75, v83, v75
	v_fmamk_f16 v83, v72, 0xbacd, v85
	v_sub_f16_e32 v92, v65, v57
	v_add_f16_e32 v96, v57, v65
	v_add_f16_e32 v70, v88, v70
	v_fmamk_f16 v88, v73, 0x3836, v86
	v_add_f16_e32 v40, v81, v40
	v_add_f16_e32 v78, v83, v78
	;; [unrolled: 1-line block ×3, first 2 shown]
	v_mul_f16_e32 v121, 0x35c8, v92
	v_fma_f16 v85, v72, 0xbacd, -v85
	v_fmac_f16_e32 v86, 0xb836, v73
	v_sub_f16_e32 v83, v35, v24
	v_mul_f16_e32 v122, 0x3b76, v96
	v_mul_f16_e32 v125, 0xbb29, v92
	v_add_f16_e32 v76, v88, v76
	v_fma_f16 v88, v81, 0x3b76, -v121
	v_add_f16_e32 v79, v85, v79
	v_add_f16_e32 v74, v86, v74
	v_fmamk_f16 v85, v83, 0x35c8, v122
	v_mul_f16_e32 v129, 0x3722, v96
	v_fma_f16 v86, v81, 0x3722, -v125
	v_mul_f16_e32 v131, 0xb836, v92
	v_fmac_f16_e32 v90, 0xbbf7, v73
	v_add_f16_e32 v37, v88, v37
	v_add_f16_e32 v38, v85, v38
	v_mul_f16_e32 v134, 0xbacd, v96
	v_fmamk_f16 v85, v83, 0xbb29, v129
	v_add_f16_e32 v39, v86, v39
	v_fma_f16 v86, v81, 0xbacd, -v131
	v_mul_f16_e32 v88, 0x3a62, v92
	v_add_f16_e32 v77, v90, v77
	v_fmamk_f16 v90, v83, 0xb836, v134
	v_add_f16_e32 v41, v85, v41
	v_mul_f16_e32 v85, 0xb8d2, v96
	v_add_f16_e32 v42, v86, v42
	v_fmamk_f16 v86, v81, 0xb8d2, v88
	v_fma_f16 v88, v81, 0xb8d2, -v88
	v_add_f16_e32 v80, v90, v80
	v_mul_f16_e32 v90, 0x3964, v92
	v_fmamk_f16 v93, v83, 0xba62, v85
	v_fmac_f16_e32 v85, 0x3a62, v83
	v_add_f16_e32 v40, v88, v40
	v_mul_f16_e32 v88, 0x39e9, v96
	v_sub_f16_e32 v98, v66, v53
	v_add_f16_e32 v70, v86, v70
	v_fmamk_f16 v86, v81, 0x39e9, v90
	v_add_f16_e32 v75, v93, v75
	v_add_f16_e32 v77, v85, v77
	;; [unrolled: 1-line block ×3, first 2 shown]
	v_fmamk_f16 v93, v83, 0xb964, v88
	v_add_f16_e32 v85, v23, v36
	v_mul_f16_e32 v126, 0xbb29, v98
	v_fmac_f16_e32 v88, 0x3964, v83
	v_mul_f16_e32 v132, 0xb1e1, v98
	v_add_f16_e32 v78, v86, v78
	v_sub_f16_e32 v86, v36, v23
	v_mul_f16_e32 v128, 0x3722, v101
	v_add_f16_e32 v76, v93, v76
	v_fma_f16 v93, v85, 0x3722, -v126
	v_add_f16_e32 v74, v88, v74
	v_fma_f16 v88, v85, 0xbbdd, -v132
	v_mul_f16_e32 v136, 0xbbdd, v101
	v_mul_f16_e32 v138, 0x3bf7, v98
	v_fma_f16 v90, v81, 0x39e9, -v90
	v_fmamk_f16 v94, v86, 0xbb29, v128
	v_add_f16_e32 v37, v93, v37
	v_mul_f16_e32 v141, 0x2de8, v101
	v_add_f16_e32 v39, v88, v39
	v_fmamk_f16 v88, v86, 0xb1e1, v136
	v_fma_f16 v93, v85, 0x2de8, -v138
	v_mul_f16_e32 v99, 0x3b76, v101
	v_add_f16_e32 v79, v90, v79
	v_add_f16_e32 v38, v94, v38
	v_mul_f16_e32 v90, 0xb5c8, v98
	v_fmamk_f16 v94, v86, 0x3bf7, v141
	v_add_f16_e32 v41, v88, v41
	v_add_f16_e32 v42, v93, v42
	v_fmamk_f16 v88, v86, 0x35c8, v99
	v_mul_f16_e32 v93, 0xba62, v98
	v_fmamk_f16 v97, v85, 0x3b76, v90
	v_add_f16_e32 v80, v94, v80
	v_mul_f16_e32 v94, 0xb8d2, v101
	v_fma_f16 v90, v85, 0x3b76, -v90
	v_add_f16_e32 v75, v88, v75
	v_fmamk_f16 v88, v85, 0xb8d2, v93
	v_sub_f16_e32 v103, v61, v54
	v_add_f16_e32 v106, v54, v61
	v_add_f16_e32 v70, v97, v70
	v_fmamk_f16 v97, v86, 0x3a62, v94
	v_add_f16_e32 v40, v90, v40
	v_add_f16_e32 v78, v88, v78
	;; [unrolled: 1-line block ×3, first 2 shown]
	v_mul_f16_e32 v133, 0xb836, v103
	v_fma_f16 v93, v85, 0xb8d2, -v93
	v_fmac_f16_e32 v94, 0xba62, v86
	v_sub_f16_e32 v90, v33, v28
	v_mul_f16_e32 v135, 0xbacd, v106
	v_mul_f16_e32 v137, 0x3bf7, v103
	v_fmac_f16_e32 v99, 0xb5c8, v86
	v_add_f16_e32 v76, v97, v76
	v_fma_f16 v97, v88, 0xbacd, -v133
	v_add_f16_e32 v79, v93, v79
	v_add_f16_e32 v74, v94, v74
	v_fmamk_f16 v93, v90, 0xb836, v135
	v_mul_f16_e32 v142, 0x2de8, v106
	v_fma_f16 v94, v88, 0x2de8, -v137
	v_mul_f16_e32 v145, 0xb964, v103
	v_mul_f16_e32 v148, 0x39e9, v106
	v_add_f16_e32 v77, v99, v77
	v_add_f16_e32 v37, v97, v37
	;; [unrolled: 1-line block ×3, first 2 shown]
	v_fmamk_f16 v93, v90, 0x3bf7, v142
	v_add_f16_e32 v39, v94, v39
	v_fma_f16 v94, v88, 0x39e9, -v145
	v_mul_f16_e32 v97, 0xb1e1, v103
	v_fmamk_f16 v99, v90, 0xb964, v148
	v_add_f16_e32 v41, v93, v41
	v_mul_f16_e32 v93, 0xbbdd, v106
	v_add_f16_e32 v42, v94, v42
	v_fmamk_f16 v94, v88, 0xbbdd, v97
	v_add_f16_e32 v80, v99, v80
	v_mul_f16_e32 v99, 0x3b29, v103
	v_fmamk_f16 v109, v90, 0x31e1, v93
	v_add_f16_e32 v110, v55, v62
	v_add_f16_e32 v70, v94, v70
	v_fma_f16 v97, v88, 0xbbdd, -v97
	v_fmamk_f16 v94, v88, 0x3722, v99
	v_fmac_f16_e32 v93, 0xb1e1, v90
	v_add_f16_e32 v75, v109, v75
	v_sub_f16_e32 v109, v62, v55
	v_mul_f16_e32 v140, 0xb8d2, v110
	v_add_f16_e32 v78, v94, v78
	v_sub_f16_e32 v94, v34, v27
	v_add_f16_e32 v40, v97, v40
	v_mul_f16_e32 v97, 0x3722, v106
	v_add_f16_e32 v77, v93, v77
	v_add_f16_e32 v93, v27, v34
	v_fmamk_f16 v118, v94, 0x3a62, v140
	v_mul_f16_e32 v144, 0xb5c8, v109
	v_fmamk_f16 v117, v90, 0xbb29, v97
	v_mul_f16_e32 v139, 0x3a62, v109
	v_fma_f16 v99, v88, 0x3722, -v99
	v_fmac_f16_e32 v97, 0x3b29, v90
	v_add_f16_e32 v153, v118, v38
	v_fma_f16 v38, v93, 0x3b76, -v144
	v_mul_f16_e32 v147, 0x3b76, v110
	v_mul_f16_e32 v150, 0xb1e1, v109
	v_add_f16_e32 v76, v117, v76
	v_fma_f16 v117, v93, 0xb8d2, -v139
	v_add_f16_e32 v79, v99, v79
	v_add_f16_e32 v74, v97, v74
	v_mul_f16_e32 v152, 0xbbdd, v110
	v_mul_f16_e32 v97, 0x3964, v109
	v_add_f16_e32 v39, v38, v39
	v_fmamk_f16 v38, v94, 0xb5c8, v147
	v_fma_f16 v99, v93, 0xbbdd, -v150
	v_mul_f16_e32 v143, 0x39e9, v110
	v_add_f16_e32 v37, v117, v37
	v_fmamk_f16 v117, v94, 0xb1e1, v152
	v_fmamk_f16 v118, v93, 0x39e9, v97
	v_add_f16_e32 v41, v38, v41
	v_add_f16_e32 v42, v99, v42
	v_fmamk_f16 v38, v94, 0xb964, v143
	v_mul_f16_e32 v99, 0xbbb2, v109
	v_add_f16_e32 v80, v117, v80
	v_add_f16_e32 v70, v118, v70
	v_mul_f16_e32 v151, 0xb461, v110
	v_fma_f16 v97, v93, 0x39e9, -v97
	v_fmac_f16_e32 v143, 0x3964, v94
	v_add_f16_e32 v155, v38, v75
	v_fmamk_f16 v38, v93, 0xb461, v99
	v_sub_f16_e32 v117, v60, v56
	v_add_f16_e32 v118, v56, v60
	v_fmamk_f16 v75, v94, 0x3bb2, v151
	v_add_f16_e32 v156, v97, v40
	v_add_f16_e32 v157, v143, v77
	v_add_f16_e32 v158, v38, v78
	v_add_f16_e32 v97, v26, v25
	v_mul_f16_e32 v143, 0x3964, v117
	v_fma_f16 v38, v93, 0xb461, -v99
	v_sub_f16_e32 v99, v25, v26
	v_mul_f16_e32 v146, 0x39e9, v118
	v_add_f16_e32 v159, v75, v76
	v_fmac_f16_e32 v151, 0xbbb2, v94
	v_fma_f16 v40, v97, 0x39e9, -v143
	v_mul_f16_e32 v149, 0xba62, v117
	v_fmamk_f16 v75, v99, 0x3964, v146
	v_add_f16_e32 v79, v38, v79
	v_add_f16_e32 v160, v151, v74
	;; [unrolled: 1-line block ×3, first 2 shown]
	v_fma_f16 v37, v97, 0xb8d2, -v149
	v_mul_f16_e32 v151, 0xb8d2, v118
	v_add_f16_e32 v77, v75, v153
	v_mul_f16_e32 v153, 0x3b29, v117
	v_mul_f16_e32 v154, 0x3722, v118
	v_add_f16_e32 v37, v37, v39
	v_fmamk_f16 v39, v99, 0xba62, v151
	v_mul_f16_e32 v74, 0xbbb2, v117
	v_fma_f16 v40, v97, 0x3722, -v153
	v_fmamk_f16 v75, v99, 0x3b29, v154
	v_mul_f16_e32 v78, 0xb461, v118
	v_add_f16_e32 v76, v39, v41
	v_fmamk_f16 v39, v97, 0xb461, v74
	v_add_f16_e32 v40, v40, v42
	v_add_f16_e32 v75, v75, v80
	v_fmamk_f16 v41, v99, 0x3bb2, v78
	v_fma_f16 v42, v97, 0xb461, -v74
	v_mul_f16_e32 v80, 0x3bf7, v117
	v_mul_f16_e32 v161, 0x2de8, v118
	v_add_f16_e32 v70, v39, v70
	v_add_f16_e32 v74, v41, v155
	;; [unrolled: 1-line block ×3, first 2 shown]
	v_fmac_f16_e32 v78, 0xbbb2, v99
	v_fmamk_f16 v41, v97, 0x2de8, v80
	v_fmamk_f16 v42, v99, 0xbbf7, v161
	v_fma_f16 v155, v97, 0x2de8, -v80
	v_fmac_f16_e32 v161, 0x3bf7, v99
	v_add_f16_e32 v78, v78, v157
	v_add_f16_e32 v41, v41, v158
	;; [unrolled: 1-line block ×5, first 2 shown]
	s_barrier
	buffer_gl0_inv
	s_and_saveexec_b32 s1, vcc_lo
	s_cbranch_execz .LBB0_17
; %bb.16:
	v_mul_f16_e32 v160, 0xba62, v68
	v_mul_f16_e32 v159, 0xb8d2, v67
	;; [unrolled: 1-line block ×5, first 2 shown]
	v_sub_f16_e32 v114, v114, v160
	v_mul_f16_e32 v172, 0xb5c8, v73
	v_sub_f16_e32 v123, v123, v166
	v_add_f16_e32 v111, v159, v111
	v_mul_f16_e32 v164, 0x3836, v71
	v_add_f16_e32 v114, v58, v114
	v_mul_f16_e32 v171, 0x3b76, v72
	v_mul_f16_e32 v178, 0xb836, v83
	v_add_f16_e32 v111, v29, v111
	v_add_f16_e32 v119, v165, v119
	;; [unrolled: 1-line block ×3, first 2 shown]
	v_sub_f16_e32 v123, v130, v172
	v_sub_f16_e32 v107, v107, v158
	v_mul_f16_e32 v170, 0x3964, v73
	v_mul_f16_e32 v177, 0xbacd, v81
	;; [unrolled: 1-line block ×3, first 2 shown]
	v_add_f16_e32 v114, v123, v114
	v_sub_f16_e32 v123, v134, v178
	v_add_f16_e32 v111, v119, v111
	v_add_f16_e32 v119, v171, v127
	v_add_f16_e32 v107, v58, v107
	v_sub_f16_e32 v116, v116, v164
	v_mul_f16_e32 v176, 0xbb29, v83
	v_mul_f16_e32 v183, 0x2de8, v85
	;; [unrolled: 1-line block ×3, first 2 shown]
	v_add_f16_e32 v114, v123, v114
	v_sub_f16_e32 v123, v141, v184
	v_add_f16_e32 v111, v119, v111
	v_add_f16_e32 v119, v177, v131
	;; [unrolled: 1-line block ×3, first 2 shown]
	v_sub_f16_e32 v116, v124, v170
	v_mul_f16_e32 v157, 0xb461, v67
	v_mul_f16_e32 v182, 0xb1e1, v86
	;; [unrolled: 1-line block ×4, first 2 shown]
	v_add_f16_e32 v114, v123, v114
	v_sub_f16_e32 v123, v148, v166
	v_add_f16_e32 v111, v119, v111
	v_add_f16_e32 v119, v183, v138
	;; [unrolled: 1-line block ×3, first 2 shown]
	v_sub_f16_e32 v116, v129, v176
	v_mul_f16_e32 v156, 0xbbf7, v68
	v_mul_f16_e32 v163, 0xbacd, v69
	;; [unrolled: 1-line block ×4, first 2 shown]
	v_add_f16_e32 v114, v123, v114
	v_sub_f16_e32 v123, v152, v192
	v_mul_f16_e32 v131, 0x3b29, v99
	v_add_f16_e32 v111, v119, v111
	v_add_f16_e32 v119, v188, v145
	;; [unrolled: 1-line block ×4, first 2 shown]
	v_sub_f16_e32 v116, v136, v182
	v_mul_f16_e32 v162, 0xb1e1, v71
	v_mul_f16_e32 v169, 0x39e9, v72
	;; [unrolled: 1-line block ×3, first 2 shown]
	v_add_f16_e32 v114, v123, v114
	v_sub_f16_e32 v123, v154, v131
	v_add_f16_e32 v111, v119, v111
	v_add_f16_e32 v119, v172, v150
	;; [unrolled: 1-line block ×5, first 2 shown]
	v_sub_f16_e32 v116, v142, v187
	v_sub_f16_e32 v102, v102, v156
	v_mul_f16_e32 v168, 0x3bb2, v73
	v_mul_f16_e32 v175, 0x3722, v81
	v_add_f16_e32 v104, v123, v114
	v_add_f16_e32 v111, v119, v111
	;; [unrolled: 1-line block ×7, first 2 shown]
	v_sub_f16_e32 v108, v108, v162
	v_mul_f16_e32 v155, 0x2de8, v67
	v_mul_f16_e32 v174, 0x35c8, v83
	;; [unrolled: 1-line block ×4, first 2 shown]
	v_add_f16_e32 v112, v114, v112
	v_add_f16_e32 v114, v175, v125
	v_add_f16_e32 v102, v119, v111
	v_add_f16_e32 v108, v108, v116
	v_sub_f16_e32 v111, v115, v168
	v_mul_f16_e32 v161, 0xbbdd, v69
	v_mul_f16_e32 v180, 0xbb29, v86
	v_mul_f16_e32 v186, 0x2de8, v88
	v_mul_f16_e32 v165, 0xba62, v99
	v_sub_f16_e32 v120, v147, v130
	v_add_f16_e32 v112, v114, v112
	v_add_f16_e32 v114, v181, v132
	;; [unrolled: 1-line block ×4, first 2 shown]
	v_sub_f16_e32 v111, v122, v174
	v_mul_f16_e32 v167, 0xb461, v72
	v_mul_f16_e32 v160, 0xb836, v90
	;; [unrolled: 1-line block ×3, first 2 shown]
	v_add_f16_e32 v107, v120, v107
	v_add_f16_e32 v112, v114, v112
	;; [unrolled: 1-line block ×3, first 2 shown]
	v_sub_f16_e32 v115, v151, v165
	v_add_f16_e32 v100, v29, v100
	v_add_f16_e32 v105, v161, v105
	;; [unrolled: 1-line block ×3, first 2 shown]
	v_sub_f16_e32 v111, v128, v180
	v_mul_f16_e32 v141, 0xb8d2, v97
	v_add_f16_e32 v112, v114, v112
	v_add_f16_e32 v114, v191, v144
	;; [unrolled: 1-line block ×6, first 2 shown]
	v_sub_f16_e32 v108, v135, v160
	v_mul_f16_e32 v190, 0x3a62, v94
	v_add_f16_e32 v111, v114, v112
	v_add_f16_e32 v105, v113, v105
	;; [unrolled: 1-line block ×4, first 2 shown]
	v_mul_f16_e32 v108, 0x3722, v87
	v_sub_f16_e32 v114, v140, v190
	v_mul_f16_e32 v115, 0xb8d2, v91
	v_add_f16_e32 v111, v113, v111
	v_mul_f16_e32 v159, 0x3964, v99
	v_fmamk_f16 v113, v68, 0x3b29, v108
	v_add_f16_e32 v107, v114, v107
	v_fmamk_f16 v114, v71, 0x3a62, v115
	v_mul_f16_e32 v116, 0xbbdd, v95
	v_sub_f16_e32 v119, v146, v159
	v_add_f16_e32 v113, v58, v113
	v_mul_f16_e32 v120, 0xb461, v96
	v_mul_f16_e32 v173, 0x3b76, v81
	;; [unrolled: 1-line block ×3, first 2 shown]
	v_add_f16_e32 v107, v119, v107
	v_add_f16_e32 v113, v114, v113
	v_fmamk_f16 v114, v73, 0xb1e1, v116
	v_mul_f16_e32 v119, 0x39e9, v101
	v_mul_f16_e32 v179, 0x3722, v85
	v_add_f16_e32 v112, v173, v121
	v_mul_f16_e32 v127, 0x2de8, v110
	v_add_f16_e32 v113, v114, v113
	v_fmamk_f16 v114, v83, 0xbbb2, v120
	v_mul_f16_e32 v185, 0xbacd, v88
	v_add_f16_e32 v105, v112, v105
	v_add_f16_e32 v112, v179, v126
	v_mul_f16_e32 v129, 0x39e9, v87
	v_add_f16_e32 v113, v114, v113
	v_fmamk_f16 v114, v86, 0xb964, v119
	v_mul_f16_e32 v136, 0xb8d2, v95
	v_add_f16_e32 v105, v112, v105
	v_add_f16_e32 v112, v185, v133
	v_fmamk_f16 v132, v68, 0x3964, v129
	v_add_f16_e32 v113, v114, v113
	v_fmamk_f16 v114, v90, 0x35c8, v124
	v_mul_f16_e32 v133, 0x2de8, v91
	v_mul_f16_e32 v138, 0xbacd, v101
	v_add_f16_e32 v132, v58, v132
	v_mul_f16_e32 v142, 0xb461, v106
	v_add_f16_e32 v113, v114, v113
	v_fmamk_f16 v114, v94, 0x3bf7, v127
	v_fmamk_f16 v135, v71, 0x3bf7, v133
	v_mul_f16_e32 v145, 0x3722, v110
	v_mul_f16_e32 v87, 0x3b76, v87
	v_add_f16_e32 v30, v30, v29
	v_add_f16_e32 v113, v114, v113
	v_mul_f16_e32 v114, 0xbacd, v118
	v_mul_f16_e32 v91, 0x39e9, v91
	v_fmamk_f16 v149, v68, 0x35c8, v87
	v_add_f16_e32 v30, v31, v30
	v_add_f16_e32 v31, v64, v58
	v_fmamk_f16 v131, v99, 0x3836, v114
	v_fmamk_f16 v151, v71, 0x3964, v91
	v_add_f16_e32 v149, v58, v149
	v_mul_f16_e32 v95, 0x3722, v95
	v_add_f16_e32 v30, v32, v30
	v_add_f16_e32 v113, v131, v113
	;; [unrolled: 1-line block ×3, first 2 shown]
	v_fmamk_f16 v132, v73, 0x3a62, v136
	v_mul_f16_e32 v135, 0xbbdd, v96
	v_add_f16_e32 v31, v63, v31
	v_mul_f16_e32 v96, 0x2de8, v96
	v_add_f16_e32 v30, v35, v30
	v_add_f16_e32 v131, v132, v131
	v_fmamk_f16 v132, v83, 0x31e1, v135
	v_add_f16_e32 v31, v59, v31
	v_fmamk_f16 v64, v83, 0x3bf7, v96
	v_mul_f16_e32 v101, 0xb461, v101
	v_add_f16_e32 v30, v36, v30
	v_add_f16_e32 v131, v132, v131
	v_fmamk_f16 v132, v86, 0xb836, v138
	v_add_f16_e32 v31, v65, v31
	v_fmamk_f16 v63, v86, 0x3bb2, v101
	;; [unrolled: 6-line block ×3, first 2 shown]
	v_add_f16_e32 v30, v34, v30
	v_mul_f16_e32 v66, 0xbb29, v89
	v_add_f16_e32 v131, v132, v131
	v_fmamk_f16 v132, v94, 0xbb29, v145
	v_add_f16_e32 v31, v61, v31
	v_add_f16_e32 v33, v29, v36
	;; [unrolled: 1-line block ×3, first 2 shown]
	v_fmamk_f16 v34, v72, 0x3722, v66
	v_add_f16_e32 v131, v132, v131
	v_mul_f16_e32 v132, 0x3b76, v118
	v_add_f16_e32 v30, v62, v31
	v_mul_f16_e32 v31, 0xbbf7, v92
	;; [unrolled: 2-line block ×3, first 2 shown]
	v_fmamk_f16 v148, v99, 0xb5c8, v132
	v_add_f16_e32 v26, v60, v30
	v_fmamk_f16 v30, v81, 0x2de8, v31
	v_add_f16_e32 v25, v27, v25
	v_mul_f16_e32 v59, 0xb8d2, v106
	v_add_f16_e32 v131, v148, v131
	v_add_f16_e32 v148, v151, v149
	v_fmamk_f16 v149, v73, 0x3b29, v95
	v_add_f16_e32 v26, v56, v26
	v_add_f16_e32 v25, v28, v25
	;; [unrolled: 1-line block ×6, first 2 shown]
	v_fmamk_f16 v65, v90, 0x3a62, v59
	v_add_f16_e32 v23, v23, v25
	v_add_f16_e32 v105, v112, v105
	;; [unrolled: 1-line block ×4, first 2 shown]
	v_mul_f16_e32 v26, 0xb836, v109
	v_mul_f16_e32 v112, 0xbb29, v82
	v_add_f16_e32 v23, v24, v23
	v_add_f16_e32 v32, v63, v32
	v_mul_f16_e32 v63, 0xb964, v84
	v_add_f16_e32 v24, v53, v25
	v_fmamk_f16 v25, v93, 0xbacd, v26
	v_fmamk_f16 v122, v67, 0x3722, v112
	v_add_f16_e32 v32, v65, v32
	v_fmamk_f16 v36, v69, 0x39e9, v63
	v_mul_f16_e32 v123, 0xba62, v84
	v_add_f16_e32 v17, v17, v23
	v_add_f16_e32 v23, v57, v24
	v_mul_f16_e32 v134, 0x39e9, v97
	v_add_f16_e32 v33, v36, v33
	v_mul_f16_e32 v36, 0xbacd, v110
	v_add_f16_e32 v122, v29, v122
	v_fmamk_f16 v125, v69, 0xb8d2, v123
	v_mul_f16_e32 v126, 0x31e1, v89
	v_add_f16_e32 v33, v34, v33
	v_mul_f16_e32 v34, 0xbbb2, v98
	v_fmamk_f16 v60, v94, 0x3836, v36
	v_add_f16_e32 v17, v18, v17
	v_add_f16_e32 v18, v49, v23
	;; [unrolled: 1-line block ×3, first 2 shown]
	v_fmamk_f16 v30, v85, 0xb461, v34
	v_mul_f16_e32 v33, 0xba62, v103
	v_add_f16_e32 v28, v60, v32
	v_mul_f16_e32 v32, 0xbbdd, v118
	v_add_f16_e32 v121, v134, v143
	v_add_f16_e32 v27, v30, v27
	v_fmamk_f16 v30, v88, 0xb8d2, v33
	v_add_f16_e32 v122, v125, v122
	v_fmamk_f16 v53, v99, 0x31e1, v32
	v_fmamk_f16 v125, v72, 0xbbdd, v126
	v_mul_f16_e32 v128, 0x3bb2, v92
	v_add_f16_e32 v27, v30, v27
	v_mul_f16_e32 v30, 0xb1e1, v117
	v_fmac_f16_e32 v129, 0xb964, v68
	v_add_f16_e32 v105, v121, v105
	v_add_f16_e32 v121, v125, v122
	;; [unrolled: 1-line block ×3, first 2 shown]
	v_fmamk_f16 v25, v97, 0xbbdd, v30
	v_add_f16_e32 v27, v53, v28
	v_fma_f16 v28, v69, 0xb8d2, -v123
	v_fmamk_f16 v122, v81, 0xb461, v128
	v_mul_f16_e32 v125, 0x3964, v98
	v_add_f16_e32 v23, v25, v24
	v_fma_f16 v24, v67, 0x3722, -v112
	v_add_f16_e32 v17, v46, v17
	v_add_f16_e32 v46, v58, v129
	v_fmac_f16_e32 v133, 0xbbf7, v71
	v_add_f16_e32 v121, v122, v121
	v_add_f16_e32 v24, v29, v24
	v_fmamk_f16 v122, v85, 0x39e9, v125
	v_mul_f16_e32 v130, 0xb5c8, v103
	v_add_f16_e32 v46, v133, v46
	v_fmac_f16_e32 v136, 0xba62, v73
	v_add_f16_e32 v24, v28, v24
	v_fma_f16 v28, v72, 0xbbdd, -v126
	v_add_f16_e32 v121, v122, v121
	v_fmamk_f16 v122, v88, 0x3b76, v130
	v_mul_f16_e32 v134, 0xbbf7, v109
	v_mul_f16_e32 v137, 0xb964, v82
	v_add_f16_e32 v24, v28, v24
	v_fma_f16 v28, v81, 0xb461, -v128
	v_add_f16_e32 v46, v136, v46
	v_fmac_f16_e32 v135, 0xb1e1, v83
	v_add_f16_e32 v121, v122, v121
	v_fmamk_f16 v122, v93, 0x2de8, v134
	v_add_f16_e32 v24, v28, v24
	v_fma_f16 v28, v85, 0x39e9, -v125
	v_fmamk_f16 v140, v67, 0x39e9, v137
	v_mul_f16_e32 v141, 0xbbf7, v84
	v_add_f16_e32 v46, v135, v46
	v_fmac_f16_e32 v138, 0x3836, v86
	v_add_f16_e32 v24, v28, v24
	v_fma_f16 v28, v88, 0x3b76, -v130
	v_add_f16_e32 v121, v122, v121
	v_mul_f16_e32 v122, 0xb836, v117
	v_add_f16_e32 v140, v29, v140
	v_fmamk_f16 v143, v69, 0x2de8, v141
	v_mul_f16_e32 v144, 0xba62, v89
	v_add_f16_e32 v18, v48, v18
	v_add_f16_e32 v24, v28, v24
	v_fma_f16 v28, v93, 0x2de8, -v134
	v_add_f16_e32 v46, v138, v46
	v_fmac_f16_e32 v142, 0x3bb2, v90
	v_fmamk_f16 v139, v97, 0xbacd, v122
	v_add_f16_e32 v140, v143, v140
	v_fmamk_f16 v143, v72, 0xb8d2, v144
	v_mul_f16_e32 v146, 0xb1e1, v92
	v_add_f16_e32 v18, v47, v18
	v_add_f16_e32 v24, v28, v24
	v_fma_f16 v28, v97, 0xbacd, -v122
	v_add_f16_e32 v46, v142, v46
	v_fmac_f16_e32 v145, 0x3b29, v94
	v_fma_f16 v47, v67, 0x39e9, -v137
	v_fmac_f16_e32 v108, 0xbb29, v68
	v_fmac_f16_e32 v87, 0xb5c8, v68
	v_fma_f16 v35, v67, 0x3b76, -v35
	v_add_f16_e32 v121, v139, v121
	v_add_f16_e32 v139, v143, v140
	v_fmamk_f16 v140, v81, 0xbbdd, v146
	v_mul_f16_e32 v143, 0x3836, v98
	v_add_f16_e32 v24, v28, v24
	v_add_f16_e32 v28, v145, v46
	;; [unrolled: 1-line block ×3, first 2 shown]
	v_fma_f16 v47, v69, 0x2de8, -v141
	v_add_f16_e32 v25, v58, v108
	v_fmac_f16_e32 v115, 0xba62, v71
	v_add_f16_e32 v48, v58, v87
	v_fmac_f16_e32 v91, 0xb964, v71
	v_add_f16_e32 v29, v29, v35
	v_fma_f16 v35, v69, 0x39e9, -v63
	v_add_f16_e32 v139, v140, v139
	v_fmamk_f16 v140, v85, 0xbacd, v143
	v_mul_f16_e32 v147, 0x3bb2, v103
	v_add_f16_e32 v46, v47, v46
	v_fma_f16 v47, v72, 0xb8d2, -v144
	v_add_f16_e32 v25, v115, v25
	v_fmac_f16_e32 v116, 0x31e1, v73
	v_add_f16_e32 v48, v91, v48
	v_fmac_f16_e32 v95, 0xbb29, v73
	v_add_f16_e32 v29, v35, v29
	v_fma_f16 v35, v72, 0x3722, -v66
	v_add_f16_e32 v139, v140, v139
	v_fmamk_f16 v140, v88, 0xb461, v147
	v_mul_f16_e32 v150, 0x3b29, v109
	v_add_f16_e32 v46, v47, v46
	v_fma_f16 v47, v81, 0xbbdd, -v146
	v_add_f16_e32 v25, v116, v25
	v_fmac_f16_e32 v120, 0x3bb2, v83
	v_add_f16_e32 v48, v95, v48
	v_fmac_f16_e32 v96, 0xbbf7, v83
	v_add_f16_e32 v29, v35, v29
	v_fma_f16 v31, v81, 0x2de8, -v31
	v_add_f16_e32 v139, v140, v139
	v_fmamk_f16 v140, v93, 0x3722, v150
	v_add_f16_e32 v46, v47, v46
	v_fma_f16 v47, v85, 0xbacd, -v143
	v_add_f16_e32 v25, v120, v25
	v_fmac_f16_e32 v119, 0x3964, v86
	v_add_f16_e32 v48, v96, v48
	v_fmac_f16_e32 v101, 0xbbb2, v86
	v_add_f16_e32 v29, v31, v29
	v_fma_f16 v31, v85, 0xb461, -v34
	v_add_f16_e32 v139, v140, v139
	v_mul_f16_e32 v140, 0x35c8, v117
	v_add_f16_e32 v35, v47, v46
	v_fma_f16 v46, v88, 0xb461, -v147
	v_add_f16_e32 v25, v119, v25
	v_fmac_f16_e32 v124, 0xb5c8, v90
	v_add_f16_e32 v47, v101, v48
	v_fmac_f16_e32 v59, 0xba62, v90
	v_add_f16_e32 v29, v31, v29
	v_fma_f16 v31, v88, 0xb8d2, -v33
	v_fmamk_f16 v149, v97, 0x3b76, v140
	v_add_f16_e32 v34, v46, v35
	v_fma_f16 v35, v93, 0x3722, -v150
	v_add_f16_e32 v25, v124, v25
	v_fmac_f16_e32 v127, 0xbbf7, v94
	v_add_f16_e32 v46, v59, v47
	v_fmac_f16_e32 v36, 0xb836, v94
	v_add_f16_e32 v29, v31, v29
	v_fma_f16 v26, v93, 0xbacd, -v26
	v_mov_b32_e32 v31, 2
	v_add_f16_e32 v64, v149, v139
	v_add_f16_e32 v33, v35, v34
	v_fma_f16 v34, v97, 0x3b76, -v140
	v_add_f16_e32 v25, v127, v25
	v_fmac_f16_e32 v114, 0xb836, v99
	v_fmac_f16_e32 v132, 0x35c8, v99
	v_add_f16_e32 v35, v36, v46
	v_fmac_f16_e32 v32, 0xb1e1, v99
	v_add_f16_e32 v26, v26, v29
	v_fma_f16 v29, v97, 0xbbdd, -v30
	v_lshlrev_b32_sdwa v30, v31, v45 dst_sel:DWORD dst_unused:UNUSED_PAD src0_sel:DWORD src1_sel:WORD_0
	v_pack_b32_f16 v23, v23, v27
	v_pack_b32_f16 v17, v17, v18
	;; [unrolled: 1-line block ×4, first 2 shown]
	v_add_f16_e32 v33, v34, v33
	v_pack_b32_f16 v31, v111, v100
	v_pack_b32_f16 v34, v105, v107
	v_add_f16_e32 v25, v114, v25
	v_add_f16_e32 v28, v132, v28
	;; [unrolled: 1-line block ×3, first 2 shown]
	v_pack_b32_f16 v35, v102, v104
	v_perm_b32 v36, v74, v70, 0x5040100
	v_add_f16_e32 v26, v29, v26
	ds_write2_b32 v30, v17, v23 offset1:1
	ds_write2_b32 v30, v27, v18 offset0:2 offset1:3
	ds_write2_b32 v30, v34, v31 offset0:4 offset1:5
	ds_write2_b32 v30, v35, v36 offset0:6 offset1:7
	v_perm_b32 v17, v79, v42, 0x5040100
	v_perm_b32 v18, v80, v41, 0x5040100
	;; [unrolled: 1-line block ×6, first 2 shown]
	v_pack_b32_f16 v28, v33, v28
	v_pack_b32_f16 v24, v24, v25
	;; [unrolled: 1-line block ×3, first 2 shown]
	ds_write2_b32 v30, v18, v17 offset0:8 offset1:9
	ds_write2_b32 v30, v27, v23 offset0:10 offset1:11
	;; [unrolled: 1-line block ×4, first 2 shown]
	ds_write_b32 v30, v25 offset:64
.LBB0_17:
	s_or_b32 exec_lo, exec_lo, s1
	v_add_nc_u32_e32 v28, 0x400, v43
	v_add_nc_u32_e32 v29, 0x800, v43
	s_waitcnt lgkmcnt(0)
	s_barrier
	buffer_gl0_inv
	ds_read2_b32 v[17:18], v43 offset1:153
	ds_read2_b32 v[25:26], v28 offset0:50 offset1:203
	ds_read2_b32 v[23:24], v29 offset0:100 offset1:253
	ds_read_b32 v27, v43 offset:3672
	s_and_saveexec_b32 s1, s0
	s_cbranch_execz .LBB0_19
; %bb.18:
	v_add_nc_u32_e32 v30, 0xd00, v43
	ds_read_b32 v70, v43 offset:476
	ds_read2_b32 v[41:42], v28 offset0:16 offset1:169
	ds_read2_b32 v[39:40], v29 offset0:66 offset1:219
	;; [unrolled: 1-line block ×3, first 2 shown]
	s_waitcnt lgkmcnt(3)
	v_lshrrev_b32_e32 v74, 16, v70
	s_waitcnt lgkmcnt(2)
	v_lshrrev_b32_e32 v80, 16, v41
	v_lshrrev_b32_e32 v79, 16, v42
	s_waitcnt lgkmcnt(1)
	v_lshrrev_b32_e32 v78, 16, v39
	;; [unrolled: 3-line block ×3, first 2 shown]
	v_lshrrev_b32_e32 v77, 16, v38
.LBB0_19:
	s_or_b32 exec_lo, exec_lo, s1
	s_waitcnt lgkmcnt(3)
	v_lshrrev_b32_e32 v28, 16, v18
	s_waitcnt lgkmcnt(2)
	v_lshrrev_b32_e32 v29, 16, v25
	v_lshrrev_b32_e32 v30, 16, v26
	v_mul_f16_sdwa v31, v4, v18 dst_sel:DWORD dst_unused:UNUSED_PAD src0_sel:WORD_1 src1_sel:DWORD
	s_waitcnt lgkmcnt(1)
	v_lshrrev_b32_e32 v32, 16, v23
	v_mul_f16_sdwa v33, v4, v28 dst_sel:DWORD dst_unused:UNUSED_PAD src0_sel:WORD_1 src1_sel:DWORD
	v_lshrrev_b32_e32 v34, 16, v24
	s_waitcnt lgkmcnt(0)
	v_lshrrev_b32_e32 v35, 16, v27
	v_fma_f16 v28, v4, v28, -v31
	v_mul_f16_sdwa v31, v5, v29 dst_sel:DWORD dst_unused:UNUSED_PAD src0_sel:WORD_1 src1_sel:DWORD
	v_fmac_f16_e32 v33, v4, v18
	v_mul_f16_sdwa v4, v5, v25 dst_sel:DWORD dst_unused:UNUSED_PAD src0_sel:WORD_1 src1_sel:DWORD
	v_mul_f16_sdwa v18, v6, v30 dst_sel:DWORD dst_unused:UNUSED_PAD src0_sel:WORD_1 src1_sel:DWORD
	;; [unrolled: 1-line block ×4, first 2 shown]
	v_fmac_f16_e32 v31, v5, v25
	v_fma_f16 v4, v5, v29, -v4
	v_fmac_f16_e32 v18, v6, v26
	v_fma_f16 v5, v6, v30, -v36
	v_mul_f16_sdwa v6, v22, v35 dst_sel:DWORD dst_unused:UNUSED_PAD src0_sel:WORD_1 src1_sel:DWORD
	v_mul_f16_sdwa v25, v22, v27 dst_sel:DWORD dst_unused:UNUSED_PAD src0_sel:WORD_1 src1_sel:DWORD
	;; [unrolled: 1-line block ×4, first 2 shown]
	v_fmac_f16_e32 v45, v7, v23
	v_mul_f16_sdwa v23, v7, v23 dst_sel:DWORD dst_unused:UNUSED_PAD src0_sel:WORD_1 src1_sel:DWORD
	v_fmac_f16_e32 v6, v22, v27
	v_fma_f16 v22, v22, v35, -v25
	v_fmac_f16_e32 v26, v21, v24
	v_fma_f16 v21, v21, v34, -v29
	v_fma_f16 v7, v7, v32, -v23
	v_add_f16_e32 v23, v33, v6
	v_add_f16_e32 v24, v28, v22
	;; [unrolled: 1-line block ×4, first 2 shown]
	v_sub_f16_e32 v22, v28, v22
	v_sub_f16_e32 v26, v31, v26
	;; [unrolled: 1-line block ×3, first 2 shown]
	v_add_f16_e32 v21, v18, v45
	v_add_f16_e32 v28, v5, v7
	v_sub_f16_e32 v18, v45, v18
	v_sub_f16_e32 v5, v7, v5
	v_add_f16_e32 v7, v25, v23
	v_add_f16_e32 v29, v27, v24
	v_sub_f16_e32 v6, v33, v6
	v_sub_f16_e32 v30, v25, v23
	;; [unrolled: 1-line block ×7, first 2 shown]
	v_add_f16_e32 v32, v18, v26
	v_add_f16_e32 v33, v5, v4
	v_sub_f16_e32 v34, v18, v26
	v_sub_f16_e32 v35, v5, v4
	v_add_f16_e32 v7, v21, v7
	v_add_f16_e32 v21, v28, v29
	v_sub_f16_e32 v26, v26, v6
	v_sub_f16_e32 v4, v4, v22
	;; [unrolled: 1-line block ×4, first 2 shown]
	v_add_f16_e32 v6, v32, v6
	v_add_f16_e32 v22, v33, v22
	;; [unrolled: 1-line block ×3, first 2 shown]
	v_add_f16_sdwa v17, v17, v21 dst_sel:DWORD dst_unused:UNUSED_PAD src0_sel:WORD_1 src1_sel:DWORD
	v_mul_f16_e32 v23, 0x3a52, v23
	v_mul_f16_e32 v24, 0x3a52, v24
	;; [unrolled: 1-line block ×8, first 2 shown]
	v_fmamk_f16 v7, v7, 0xbcab, v28
	v_fmamk_f16 v21, v21, 0xbcab, v17
	;; [unrolled: 1-line block ×4, first 2 shown]
	v_fma_f16 v29, v30, 0x39e0, -v29
	v_fma_f16 v32, v31, 0x39e0, -v32
	;; [unrolled: 1-line block ×4, first 2 shown]
	v_fmamk_f16 v30, v18, 0xb574, v33
	v_fmamk_f16 v31, v5, 0xb574, v34
	v_fma_f16 v26, v26, 0xbb00, -v33
	v_fma_f16 v4, v4, 0xbb00, -v34
	;; [unrolled: 1-line block ×4, first 2 shown]
	v_add_f16_e32 v25, v25, v7
	v_add_f16_e32 v27, v27, v21
	v_fmac_f16_e32 v30, 0xb70e, v6
	v_fmac_f16_e32 v31, 0xb70e, v22
	v_add_f16_e32 v29, v29, v7
	v_add_f16_e32 v32, v32, v21
	;; [unrolled: 1-line block ×4, first 2 shown]
	v_fmac_f16_e32 v26, 0xb70e, v6
	v_fmac_f16_e32 v5, 0xb70e, v22
	;; [unrolled: 1-line block ×4, first 2 shown]
	v_add_f16_e32 v6, v31, v25
	v_sub_f16_e32 v22, v27, v30
	v_add_f16_e32 v23, v5, v7
	v_sub_f16_e32 v24, v21, v18
	v_sub_f16_e32 v33, v29, v4
	v_add_f16_e32 v34, v26, v32
	v_add_f16_e32 v4, v4, v29
	v_sub_f16_e32 v26, v32, v26
	v_sub_f16_e32 v5, v7, v5
	v_add_f16_e32 v7, v18, v21
	v_sub_f16_e32 v18, v25, v31
	v_add_f16_e32 v21, v30, v27
	v_pack_b32_f16 v17, v28, v17
	v_pack_b32_f16 v6, v6, v22
	;; [unrolled: 1-line block ×7, first 2 shown]
	s_barrier
	buffer_gl0_inv
	ds_write2_b32 v52, v17, v6 offset1:17
	ds_write2_b32 v52, v22, v23 offset0:34 offset1:51
	ds_write2_b32 v52, v4, v5 offset0:68 offset1:85
	ds_write_b32 v52, v7 offset:408
	s_and_saveexec_b32 s1, s0
	s_cbranch_execz .LBB0_21
; %bb.20:
	v_mul_f16_sdwa v5, v20, v77 dst_sel:DWORD dst_unused:UNUSED_PAD src0_sel:WORD_1 src1_sel:DWORD
	v_mul_f16_sdwa v22, v20, v38 dst_sel:DWORD dst_unused:UNUSED_PAD src0_sel:WORD_1 src1_sel:DWORD
	;; [unrolled: 1-line block ×5, first 2 shown]
	v_fmac_f16_e32 v5, v20, v38
	v_mul_f16_sdwa v24, v0, v41 dst_sel:DWORD dst_unused:UNUSED_PAD src0_sel:WORD_1 src1_sel:DWORD
	v_fma_f16 v20, v20, v77, -v22
	v_mul_f16_sdwa v22, v19, v37 dst_sel:DWORD dst_unused:UNUSED_PAD src0_sel:WORD_1 src1_sel:DWORD
	v_mul_f16_sdwa v25, v1, v42 dst_sel:DWORD dst_unused:UNUSED_PAD src0_sel:WORD_1 src1_sel:DWORD
	;; [unrolled: 1-line block ×4, first 2 shown]
	v_fmac_f16_e32 v4, v0, v41
	v_fmac_f16_e32 v17, v1, v42
	;; [unrolled: 1-line block ×3, first 2 shown]
	v_fma_f16 v0, v0, v80, -v24
	v_mul_f16_sdwa v24, v2, v39 dst_sel:DWORD dst_unused:UNUSED_PAD src0_sel:WORD_1 src1_sel:DWORD
	v_mul_f16_sdwa v26, v3, v40 dst_sel:DWORD dst_unused:UNUSED_PAD src0_sel:WORD_1 src1_sel:DWORD
	v_fma_f16 v19, v19, v76, -v22
	v_fma_f16 v1, v1, v79, -v25
	v_fmac_f16_e32 v6, v3, v40
	v_fmac_f16_e32 v7, v2, v39
	v_fma_f16 v2, v2, v78, -v24
	v_fma_f16 v3, v3, v75, -v26
	v_add_f16_e32 v24, v20, v0
	v_add_f16_e32 v25, v19, v1
	v_sub_f16_e32 v21, v4, v5
	v_sub_f16_e32 v23, v6, v7
	;; [unrolled: 1-line block ×3, first 2 shown]
	v_add_f16_e32 v27, v2, v3
	v_add_f16_e32 v29, v25, v24
	;; [unrolled: 1-line block ×3, first 2 shown]
	v_sub_f16_e32 v28, v21, v23
	v_sub_f16_e32 v26, v23, v22
	v_add_f16_e32 v23, v23, v22
	v_add_f16_e32 v29, v27, v29
	;; [unrolled: 1-line block ×4, first 2 shown]
	v_sub_f16_e32 v2, v3, v2
	v_add_f16_e32 v17, v23, v21
	v_add_f16_e32 v32, v74, v29
	;; [unrolled: 1-line block ×3, first 2 shown]
	v_sub_f16_e32 v1, v1, v19
	v_sub_f16_e32 v0, v0, v20
	;; [unrolled: 1-line block ×3, first 2 shown]
	v_fmamk_f16 v7, v29, 0xbcab, v32
	v_sub_f16_e32 v29, v4, v6
	v_add_f16_e32 v23, v6, v23
	v_sub_f16_e32 v20, v2, v1
	v_sub_f16_e32 v34, v0, v2
	v_add_f16_e32 v2, v2, v1
	v_mul_f16_e32 v3, 0x3a52, v29
	v_sub_f16_e32 v6, v6, v5
	v_add_f16_e32 v19, v70, v23
	v_sub_f16_e32 v21, v22, v21
	v_mul_f16_e32 v30, 0x3a52, v30
	v_sub_f16_e32 v27, v27, v25
	v_add_f16_e32 v2, v2, v0
	v_sub_f16_e32 v0, v1, v0
	v_mul_f16_e32 v26, 0x3846, v26
	v_fmamk_f16 v33, v6, 0x2b26, v3
	v_fmamk_f16 v23, v23, 0xbcab, v19
	v_mul_f16_e32 v20, 0x3846, v20
	v_mul_f16_e32 v35, 0xbb00, v21
	v_sub_f16_e32 v24, v25, v24
	v_fmamk_f16 v18, v27, 0x2b26, v30
	v_mul_f16_e32 v27, 0x2b26, v27
	v_mul_f16_e32 v6, 0x2b26, v6
	v_sub_f16_e32 v4, v5, v4
	v_mul_f16_e32 v25, 0xbb00, v0
	v_fmamk_f16 v31, v28, 0xb574, v26
	v_add_f16_e32 v22, v33, v23
	v_fmamk_f16 v33, v34, 0xb574, v20
	v_fma_f16 v1, v28, 0x3574, -v35
	v_fma_f16 v5, v24, 0xb9e0, -v30
	;; [unrolled: 1-line block ×8, first 2 shown]
	v_fmac_f16_e32 v31, 0xb70e, v17
	v_add_f16_e32 v18, v18, v7
	v_fmac_f16_e32 v33, 0xb70e, v2
	v_fmac_f16_e32 v1, 0xb70e, v17
	v_add_f16_e32 v5, v5, v7
	v_fmac_f16_e32 v21, 0xb70e, v17
	v_mov_b32_e32 v17, 0x77
	v_add_f16_e32 v3, v3, v23
	v_fmac_f16_e32 v25, 0xb70e, v2
	v_add_f16_e32 v6, v24, v7
	v_fmac_f16_e32 v0, 0xb70e, v2
	v_add_f16_e32 v2, v4, v23
	v_add_f16_e32 v29, v31, v18
	;; [unrolled: 1-line block ×3, first 2 shown]
	v_sub_f16_e32 v1, v5, v1
	v_mul_u32_u24_sdwa v5, v50, v17 dst_sel:DWORD dst_unused:UNUSED_PAD src0_sel:WORD_0 src1_sel:DWORD
	v_sub_f16_e32 v17, v18, v31
	v_add_f16_e32 v18, v33, v22
	v_sub_f16_e32 v7, v3, v25
	v_sub_f16_e32 v20, v6, v21
	v_add_f16_e32 v23, v0, v2
	v_add_f16_e32 v6, v21, v6
	;; [unrolled: 1-line block ×3, first 2 shown]
	v_sub_f16_e32 v0, v2, v0
	v_sub_f16_e32 v28, v22, v33
	v_add_lshl_u32 v2, v5, v51, 2
	v_pack_b32_f16 v5, v19, v32
	v_pack_b32_f16 v17, v18, v17
	;; [unrolled: 1-line block ×7, first 2 shown]
	ds_write2_b32 v2, v5, v17 offset1:17
	ds_write2_b32 v2, v1, v0 offset0:34 offset1:51
	ds_write2_b32 v2, v3, v4 offset0:68 offset1:85
	ds_write_b32 v2, v6 offset:408
.LBB0_21:
	s_or_b32 exec_lo, exec_lo, s1
	s_waitcnt lgkmcnt(0)
	s_barrier
	buffer_gl0_inv
	ds_read2_b32 v[4:5], v43 offset0:119 offset1:238
	v_add_nc_u32_e32 v0, 0x400, v43
	v_add_nc_u32_e32 v3, 0x800, v43
	;; [unrolled: 1-line block ×3, first 2 shown]
	ds_read_b32 v1, v43
	ds_read2_b32 v[6:7], v0 offset0:101 offset1:220
	ds_read2_b32 v[17:18], v3 offset0:83 offset1:202
	ds_read2_b32 v[19:20], v2 offset0:65 offset1:184
	s_waitcnt lgkmcnt(4)
	v_lshrrev_b32_e32 v22, 16, v4
	v_lshrrev_b32_e32 v23, 16, v5
	v_mul_f16_sdwa v24, v12, v4 dst_sel:DWORD dst_unused:UNUSED_PAD src0_sel:WORD_1 src1_sel:DWORD
	v_mul_f16_sdwa v25, v13, v5 dst_sel:DWORD dst_unused:UNUSED_PAD src0_sel:WORD_1 src1_sel:DWORD
	s_waitcnt lgkmcnt(2)
	v_lshrrev_b32_e32 v26, 16, v6
	v_mul_f16_sdwa v32, v12, v22 dst_sel:DWORD dst_unused:UNUSED_PAD src0_sel:WORD_1 src1_sel:DWORD
	v_lshrrev_b32_e32 v27, 16, v7
	s_waitcnt lgkmcnt(1)
	v_lshrrev_b32_e32 v28, 16, v17
	v_lshrrev_b32_e32 v29, 16, v18
	v_fma_f16 v22, v12, v22, -v24
	v_mul_f16_sdwa v24, v13, v23 dst_sel:DWORD dst_unused:UNUSED_PAD src0_sel:WORD_1 src1_sel:DWORD
	v_fmac_f16_e32 v32, v12, v4
	v_mul_f16_sdwa v4, v14, v26 dst_sel:DWORD dst_unused:UNUSED_PAD src0_sel:WORD_1 src1_sel:DWORD
	s_waitcnt lgkmcnt(0)
	v_lshrrev_b32_e32 v30, 16, v19
	v_lshrrev_b32_e32 v31, 16, v20
	v_fma_f16 v23, v13, v23, -v25
	v_mul_f16_sdwa v25, v14, v6 dst_sel:DWORD dst_unused:UNUSED_PAD src0_sel:WORD_1 src1_sel:DWORD
	v_mul_f16_sdwa v33, v15, v7 dst_sel:DWORD dst_unused:UNUSED_PAD src0_sel:WORD_1 src1_sel:DWORD
	v_fmac_f16_e32 v24, v13, v5
	v_mul_f16_sdwa v5, v15, v27 dst_sel:DWORD dst_unused:UNUSED_PAD src0_sel:WORD_1 src1_sel:DWORD
	v_mul_f16_sdwa v13, v8, v28 dst_sel:DWORD dst_unused:UNUSED_PAD src0_sel:WORD_1 src1_sel:DWORD
	v_fmac_f16_e32 v4, v14, v6
	v_mul_f16_sdwa v6, v9, v29 dst_sel:DWORD dst_unused:UNUSED_PAD src0_sel:WORD_1 src1_sel:DWORD
	v_mul_f16_sdwa v34, v8, v17 dst_sel:DWORD dst_unused:UNUSED_PAD src0_sel:WORD_1 src1_sel:DWORD
	v_fma_f16 v12, v14, v26, -v25
	v_fmac_f16_e32 v5, v15, v7
	v_fma_f16 v7, v15, v27, -v33
	v_fmac_f16_e32 v13, v8, v17
	v_fmac_f16_e32 v6, v9, v18
	v_mul_f16_sdwa v14, v11, v31 dst_sel:DWORD dst_unused:UNUSED_PAD src0_sel:WORD_1 src1_sel:DWORD
	v_mul_f16_sdwa v15, v11, v20 dst_sel:DWORD dst_unused:UNUSED_PAD src0_sel:WORD_1 src1_sel:DWORD
	;; [unrolled: 1-line block ×5, first 2 shown]
	v_fmac_f16_e32 v14, v11, v20
	v_fma_f16 v11, v11, v31, -v15
	v_fma_f16 v9, v9, v29, -v17
	v_fmac_f16_e32 v18, v10, v19
	v_fma_f16 v10, v10, v30, -v25
	v_add_f16_e32 v15, v32, v14
	v_add_f16_e32 v17, v22, v11
	v_fma_f16 v8, v8, v28, -v34
	v_add_f16_e32 v19, v24, v18
	v_add_f16_e32 v20, v23, v10
	v_sub_f16_e32 v14, v32, v14
	v_sub_f16_e32 v18, v24, v18
	v_add_f16_e32 v24, v4, v6
	v_sub_f16_e32 v4, v4, v6
	v_sub_f16_e32 v6, v12, v9
	v_add_f16_e32 v9, v12, v9
	v_add_f16_e32 v34, v19, v15
	;; [unrolled: 1-line block ×3, first 2 shown]
	v_sub_f16_e32 v11, v22, v11
	v_mul_f16_e32 v22, 0x3924, v14
	v_sub_f16_e32 v27, v7, v8
	v_add_f16_e32 v38, v24, v34
	v_add_f16_e32 v39, v9, v35
	v_sub_f16_e32 v26, v5, v13
	v_fmac_f16_e32 v22, 0x3be1, v18
	v_add_f16_e32 v28, v5, v13
	v_add_f16_e32 v29, v7, v8
	v_mul_f16_e32 v31, 0xb924, v27
	v_add_f16_e32 v5, v5, v38
	v_add_f16_e32 v7, v7, v39
	v_lshrrev_b32_e32 v21, 16, v1
	v_fmac_f16_e32 v22, 0x3aee, v4
	v_fmac_f16_e32 v31, 0x3be1, v11
	v_add_f16_e32 v5, v13, v5
	v_add_f16_e32 v7, v8, v7
	v_fmamk_f16 v32, v28, 0x3a21, v1
	v_sub_f16_e32 v10, v23, v10
	v_mul_f16_e32 v23, 0x3924, v11
	v_fmamk_f16 v25, v15, 0x3a21, v1
	v_fmamk_f16 v12, v17, 0x3a21, v21
	v_fmac_f16_e32 v22, 0x3579, v26
	v_mul_f16_e32 v30, 0xb924, v26
	v_fmamk_f16 v33, v29, 0x3a21, v21
	v_fmac_f16_e32 v31, 0xbaee, v6
	v_add_f16_e32 v36, v26, v14
	v_add_f16_e32 v37, v27, v11
	;; [unrolled: 1-line block ×4, first 2 shown]
	v_mul_f16_e32 v13, 0x3be1, v26
	v_mul_f16_e32 v26, 0x3be1, v27
	v_add_f16_e32 v5, v5, v1
	v_add_f16_e32 v7, v7, v21
	v_fmac_f16_e32 v1, 0x3a21, v19
	v_fmac_f16_e32 v21, 0x3a21, v20
	;; [unrolled: 1-line block ×5, first 2 shown]
	v_sub_f16_e32 v37, v37, v10
	v_fma_f16 v13, v18, 0xb924, -v13
	v_fma_f16 v10, v10, 0xb924, -v26
	v_fmac_f16_e32 v1, 0x318f, v28
	v_fmac_f16_e32 v21, 0x318f, v29
	;; [unrolled: 1-line block ×4, first 2 shown]
	v_fmac_f16_e32 v32, -0.5, v24
	v_fmac_f16_e32 v25, 0x318f, v19
	v_fmac_f16_e32 v12, 0x318f, v20
	;; [unrolled: 1-line block ×4, first 2 shown]
	v_fmac_f16_e32 v1, -0.5, v24
	v_fmac_f16_e32 v21, -0.5, v9
	v_fmac_f16_e32 v30, 0xbaee, v4
	v_fmac_f16_e32 v33, -0.5, v9
	v_fmac_f16_e32 v32, 0xbb84, v19
	v_add_f16_e32 v8, v28, v34
	v_add_f16_e32 v19, v29, v35
	v_fmac_f16_e32 v23, 0x3aee, v6
	v_fmac_f16_e32 v25, -0.5, v24
	v_fmac_f16_e32 v12, -0.5, v9
	v_fmac_f16_e32 v13, 0x3579, v14
	v_fmac_f16_e32 v10, 0x3579, v11
	;; [unrolled: 1-line block ×6, first 2 shown]
	v_sub_f16_e32 v36, v36, v18
	v_fmac_f16_e32 v39, -0.5, v8
	v_fmac_f16_e32 v40, -0.5, v19
	v_fmac_f16_e32 v23, 0x3579, v27
	v_fmac_f16_e32 v25, 0xbb84, v28
	;; [unrolled: 1-line block ×3, first 2 shown]
	v_sub_f16_e32 v1, v1, v10
	v_add_f16_e32 v6, v13, v21
	v_sub_f16_e32 v32, v32, v31
	v_add_f16_e32 v33, v30, v33
	v_mul_f16_e32 v38, 0x3aee, v36
	v_mul_f16_e32 v4, 0x3aee, v37
	v_fmac_f16_e32 v39, 0xbaee, v37
	v_fmac_f16_e32 v40, 0x3aee, v36
	v_sub_f16_e32 v25, v25, v23
	v_add_f16_e32 v12, v22, v12
	v_pack_b32_f16 v5, v5, v7
	v_fma_f16 v8, 2.0, v10, v1
	v_fma_f16 v9, -2.0, v13, v6
	v_fma_f16 v31, 2.0, v31, v32
	v_fma_f16 v30, -2.0, v30, v33
	;; [unrolled: 2-line block ×4, first 2 shown]
	ds_write_b32 v43, v5
	v_pack_b32_f16 v5, v25, v12
	v_pack_b32_f16 v10, v32, v33
	;; [unrolled: 1-line block ×3, first 2 shown]
	v_add_nc_u32_e32 v12, 0x200, v43
	v_pack_b32_f16 v1, v1, v6
	v_pack_b32_f16 v6, v8, v9
	v_add_nc_u32_e32 v8, 0x600, v43
	v_pack_b32_f16 v4, v4, v7
	v_pack_b32_f16 v7, v31, v30
	v_add_nc_u32_e32 v9, 0xa00, v43
	v_pack_b32_f16 v13, v23, v22
	ds_write_b32 v43, v5 offset:476
	ds_write2_b32 v12, v10, v11 offset0:110 offset1:229
	ds_write2_b32 v8, v1, v6 offset0:92 offset1:211
	;; [unrolled: 1-line block ×3, first 2 shown]
	ds_write_b32 v43, v13 offset:3808
	s_waitcnt lgkmcnt(0)
	s_barrier
	buffer_gl0_inv
	s_and_b32 exec_lo, exec_lo, vcc_lo
	s_cbranch_execz .LBB0_23
; %bb.22:
	global_load_dword v1, v43, s[8:9]
	ds_read_b32 v4, v43
	s_mov_b32 s12, 0x1e98801f
	s_mov_b32 s13, 0x3f4e9880
	v_mad_u64_u32 v[8:9], null, s6, v16, 0
	v_mad_u64_u32 v[10:11], null, s4, v44, 0
	s_mul_hi_u32 s3, s4, 0xfc
	s_mulk_i32 s4, 0xfc
	s_waitcnt lgkmcnt(0)
	v_lshrrev_b32_e32 v5, 16, v4
	s_waitcnt vmcnt(0)
	v_mul_f16_sdwa v6, v5, v1 dst_sel:DWORD dst_unused:UNUSED_PAD src0_sel:DWORD src1_sel:WORD_1
	v_mul_f16_sdwa v7, v4, v1 dst_sel:DWORD dst_unused:UNUSED_PAD src0_sel:DWORD src1_sel:WORD_1
	v_fmac_f16_e32 v6, v4, v1
	v_fma_f16 v1, v1, v5, -v7
	v_cvt_f32_f16_e32 v4, v6
	v_cvt_f32_f16_e32 v1, v1
	v_cvt_f64_f32_e32 v[4:5], v4
	v_cvt_f64_f32_e32 v[6:7], v1
	v_mov_b32_e32 v1, v9
	v_mul_f64 v[4:5], v[4:5], s[12:13]
	v_mul_f64 v[6:7], v[6:7], s[12:13]
	v_and_or_b32 v4, 0x1ff, v5, v4
	v_and_or_b32 v6, 0x1ff, v7, v6
	v_lshrrev_b32_e32 v9, 8, v5
	v_bfe_u32 v14, v5, 20, 11
	v_lshrrev_b32_e32 v12, 8, v7
	v_cmp_ne_u32_e32 vcc_lo, 0, v4
	v_bfe_u32 v15, v7, 20, 11
	v_mov_b32_e32 v4, v11
	v_sub_nc_u32_e32 v17, 0x3f1, v14
	v_add_nc_u32_e32 v14, 0xfffffc10, v14
	v_cndmask_b32_e64 v13, 0, 1, vcc_lo
	v_cmp_ne_u32_e32 vcc_lo, 0, v6
	v_sub_nc_u32_e32 v18, 0x3f1, v15
	v_add_nc_u32_e32 v15, 0xfffffc10, v15
	v_lshrrev_b32_e32 v7, 16, v7
	v_and_or_b32 v19, 0xffe, v9, v13
	v_cndmask_b32_e64 v6, 0, 1, vcc_lo
	v_and_or_b32 v6, 0xffe, v12, v6
	v_mad_u64_u32 v[11:12], null, s7, v16, v[1:2]
	v_med3_i32 v1, v17, 0, 13
	v_or_b32_e32 v17, 0x1000, v19
	v_med3_i32 v16, v18, 0, 13
	v_or_b32_e32 v18, 0x1000, v6
	v_mad_u64_u32 v[12:13], null, s5, v44, v[4:5]
	v_lshrrev_b32_e32 v4, v1, v17
	v_mov_b32_e32 v9, v11
	v_lshrrev_b32_e32 v13, v16, v18
	v_lshlrev_b32_e32 v1, v1, v4
	v_mov_b32_e32 v11, v12
	v_lshlrev_b32_e32 v12, v16, v13
	v_lshl_or_b32 v16, v14, 12, v19
	v_lshlrev_b64 v[8:9], 2, v[8:9]
	v_cmp_ne_u32_e32 vcc_lo, v1, v17
	v_cndmask_b32_e64 v1, 0, 1, vcc_lo
	v_cmp_ne_u32_e32 vcc_lo, v12, v18
	v_or_b32_e32 v1, v4, v1
	v_cndmask_b32_e64 v12, 0, 1, vcc_lo
	v_cmp_gt_i32_e32 vcc_lo, 1, v14
	v_lshl_or_b32 v4, v15, 12, v6
	v_or_b32_e32 v12, v13, v12
	v_cndmask_b32_e32 v1, v16, v1, vcc_lo
	v_cmp_gt_i32_e32 vcc_lo, 1, v15
	v_lshrrev_b32_e32 v13, 16, v5
	v_cndmask_b32_e32 v4, v4, v12, vcc_lo
	v_cmp_ne_u32_e32 vcc_lo, 0, v19
	v_and_b32_e32 v12, 7, v1
	v_lshrrev_b32_e32 v1, 2, v1
	v_and_b32_e32 v16, 7, v4
	v_cndmask_b32_e64 v5, 0, 1, vcc_lo
	v_cmp_ne_u32_e32 vcc_lo, 0, v6
	v_cmp_eq_u32_e64 s0, 3, v12
	v_lshrrev_b32_e32 v4, 2, v4
	v_cmp_lt_i32_e64 s1, 5, v16
	v_cmp_eq_u32_e64 s2, 3, v16
	v_cndmask_b32_e64 v6, 0, 1, vcc_lo
	v_cmp_lt_i32_e32 vcc_lo, 5, v12
	v_lshl_or_b32 v5, v5, 9, 0x7c00
	v_lshl_or_b32 v6, v6, 9, 0x7c00
	s_or_b32 vcc_lo, s0, vcc_lo
	v_add_co_ci_u32_e32 v1, vcc_lo, 0, v1, vcc_lo
	s_or_b32 vcc_lo, s2, s1
	v_add_co_ci_u32_e32 v4, vcc_lo, 0, v4, vcc_lo
	v_cmp_gt_i32_e32 vcc_lo, 31, v14
	v_cndmask_b32_e32 v1, 0x7c00, v1, vcc_lo
	v_cmp_gt_i32_e32 vcc_lo, 31, v15
	v_cndmask_b32_e32 v12, 0x7c00, v4, vcc_lo
	v_cmp_eq_u32_e32 vcc_lo, 0x40f, v14
	v_cndmask_b32_e32 v1, v1, v5, vcc_lo
	v_cmp_eq_u32_e32 vcc_lo, 0x40f, v15
	v_lshlrev_b64 v[4:5], 2, v[10:11]
	v_and_or_b32 v1, 0x8000, v13, v1
	v_cndmask_b32_e32 v6, v12, v6, vcc_lo
	v_add_co_u32 v8, vcc_lo, s10, v8
	v_add_co_ci_u32_e32 v9, vcc_lo, s11, v9, vcc_lo
	v_and_or_b32 v6, 0x8000, v7, v6
	v_and_b32_e32 v1, 0xffff, v1
	v_add_co_u32 v4, vcc_lo, v8, v4
	v_add_co_ci_u32_e32 v5, vcc_lo, v9, v5, vcc_lo
	v_lshl_or_b32 v1, v6, 16, v1
	ds_read2_b32 v[6:7], v43 offset0:63 offset1:126
	global_store_dword v[4:5], v1, off
	global_load_dword v1, v43, s[8:9] offset:252
	s_waitcnt lgkmcnt(0)
	v_lshrrev_b32_e32 v8, 16, v6
	s_waitcnt vmcnt(0)
	v_mul_f16_sdwa v9, v8, v1 dst_sel:DWORD dst_unused:UNUSED_PAD src0_sel:DWORD src1_sel:WORD_1
	v_mul_f16_sdwa v10, v6, v1 dst_sel:DWORD dst_unused:UNUSED_PAD src0_sel:DWORD src1_sel:WORD_1
	v_fmac_f16_e32 v9, v6, v1
	v_fma_f16 v1, v1, v8, -v10
	v_cvt_f32_f16_e32 v6, v9
	v_cvt_f32_f16_e32 v1, v1
	v_cvt_f64_f32_e32 v[8:9], v6
	v_cvt_f64_f32_e32 v[10:11], v1
	v_mul_f64 v[8:9], v[8:9], s[12:13]
	v_mul_f64 v[10:11], v[10:11], s[12:13]
	v_and_or_b32 v1, 0x1ff, v9, v8
	v_and_or_b32 v10, 0x1ff, v11, v10
	v_lshrrev_b32_e32 v6, 8, v9
	v_bfe_u32 v8, v9, 20, 11
	v_lshrrev_b32_e32 v12, 8, v11
	v_cmp_ne_u32_e32 vcc_lo, 0, v1
	v_bfe_u32 v13, v11, 20, 11
	v_lshrrev_b32_e32 v9, 16, v9
	v_sub_nc_u32_e32 v14, 0x3f1, v8
	v_add_nc_u32_e32 v8, 0xfffffc10, v8
	v_cndmask_b32_e64 v1, 0, 1, vcc_lo
	v_cmp_ne_u32_e32 vcc_lo, 0, v10
	v_and_or_b32 v1, 0xffe, v6, v1
	v_cndmask_b32_e64 v10, 0, 1, vcc_lo
	v_sub_nc_u32_e32 v6, 0x3f1, v13
	v_add_nc_u32_e32 v13, 0xfffffc10, v13
	v_and_or_b32 v10, 0xffe, v12, v10
	v_med3_i32 v12, v14, 0, 13
	v_or_b32_e32 v14, 0x1000, v1
	v_med3_i32 v6, v6, 0, 13
	v_or_b32_e32 v15, 0x1000, v10
	v_lshrrev_b32_e32 v16, v12, v14
	v_lshrrev_b32_e32 v17, v6, v15
	v_lshlrev_b32_e32 v12, v12, v16
	v_lshlrev_b32_e32 v6, v6, v17
	v_cmp_ne_u32_e32 vcc_lo, v12, v14
	v_lshl_or_b32 v14, v8, 12, v1
	v_cndmask_b32_e64 v12, 0, 1, vcc_lo
	v_cmp_ne_u32_e32 vcc_lo, v6, v15
	v_lshl_or_b32 v15, v13, 12, v10
	v_or_b32_e32 v12, v16, v12
	v_cndmask_b32_e64 v6, 0, 1, vcc_lo
	v_cmp_gt_i32_e32 vcc_lo, 1, v8
	v_or_b32_e32 v6, v17, v6
	v_cndmask_b32_e32 v12, v14, v12, vcc_lo
	v_cmp_gt_i32_e32 vcc_lo, 1, v13
	v_and_b32_e32 v14, 7, v12
	v_cndmask_b32_e32 v6, v15, v6, vcc_lo
	v_cmp_ne_u32_e32 vcc_lo, 0, v1
	v_lshrrev_b32_e32 v12, 2, v12
	v_cmp_eq_u32_e64 s0, 3, v14
	v_and_b32_e32 v15, 7, v6
	v_cndmask_b32_e64 v1, 0, 1, vcc_lo
	v_cmp_ne_u32_e32 vcc_lo, 0, v10
	v_lshrrev_b32_e32 v6, 2, v6
	v_cmp_lt_i32_e64 s1, 5, v15
	v_cmp_eq_u32_e64 s2, 3, v15
	v_cndmask_b32_e64 v10, 0, 1, vcc_lo
	v_cmp_lt_i32_e32 vcc_lo, 5, v14
	v_lshl_or_b32 v1, v1, 9, 0x7c00
	v_lshl_or_b32 v10, v10, 9, 0x7c00
	s_or_b32 vcc_lo, s0, vcc_lo
	s_mul_i32 s0, s5, 0xfc
	v_add_co_ci_u32_e32 v12, vcc_lo, 0, v12, vcc_lo
	s_or_b32 vcc_lo, s2, s1
	s_add_i32 s3, s3, s0
	v_add_co_ci_u32_e32 v6, vcc_lo, 0, v6, vcc_lo
	v_cmp_gt_i32_e32 vcc_lo, 31, v8
	v_cndmask_b32_e32 v12, 0x7c00, v12, vcc_lo
	v_cmp_gt_i32_e32 vcc_lo, 31, v13
	v_cndmask_b32_e32 v6, 0x7c00, v6, vcc_lo
	v_cmp_eq_u32_e32 vcc_lo, 0x40f, v8
	v_lshrrev_b32_e32 v8, 16, v11
	v_cndmask_b32_e32 v1, v12, v1, vcc_lo
	v_cmp_eq_u32_e32 vcc_lo, 0x40f, v13
	v_and_or_b32 v1, 0x8000, v9, v1
	v_cndmask_b32_e32 v6, v6, v10, vcc_lo
	v_add_co_u32 v4, vcc_lo, v4, s4
	v_add_co_ci_u32_e32 v5, vcc_lo, s3, v5, vcc_lo
	v_and_or_b32 v6, 0x8000, v8, v6
	v_and_b32_e32 v1, 0xffff, v1
	v_lshl_or_b32 v1, v6, 16, v1
	v_lshrrev_b32_e32 v6, 16, v7
	global_store_dword v[4:5], v1, off
	global_load_dword v1, v43, s[8:9] offset:504
	s_waitcnt vmcnt(0)
	v_mul_f16_sdwa v8, v6, v1 dst_sel:DWORD dst_unused:UNUSED_PAD src0_sel:DWORD src1_sel:WORD_1
	v_mul_f16_sdwa v9, v7, v1 dst_sel:DWORD dst_unused:UNUSED_PAD src0_sel:DWORD src1_sel:WORD_1
	v_fmac_f16_e32 v8, v7, v1
	v_fma_f16 v1, v1, v6, -v9
	v_cvt_f32_f16_e32 v6, v8
	v_cvt_f32_f16_e32 v1, v1
	v_cvt_f64_f32_e32 v[6:7], v6
	v_cvt_f64_f32_e32 v[8:9], v1
	v_mul_f64 v[6:7], v[6:7], s[12:13]
	v_mul_f64 v[8:9], v[8:9], s[12:13]
	v_and_or_b32 v1, 0x1ff, v7, v6
	v_and_or_b32 v8, 0x1ff, v9, v8
	v_lshrrev_b32_e32 v6, 8, v7
	v_bfe_u32 v10, v7, 20, 11
	v_lshrrev_b32_e32 v11, 8, v9
	v_cmp_ne_u32_e32 vcc_lo, 0, v1
	v_bfe_u32 v12, v9, 20, 11
	v_lshrrev_b32_e32 v7, 16, v7
	v_sub_nc_u32_e32 v13, 0x3f1, v10
	v_add_nc_u32_e32 v10, 0xfffffc10, v10
	v_cndmask_b32_e64 v1, 0, 1, vcc_lo
	v_cmp_ne_u32_e32 vcc_lo, 0, v8
	v_lshrrev_b32_e32 v9, 16, v9
	v_and_or_b32 v1, 0xffe, v6, v1
	v_cndmask_b32_e64 v8, 0, 1, vcc_lo
	v_sub_nc_u32_e32 v6, 0x3f1, v12
	v_add_nc_u32_e32 v12, 0xfffffc10, v12
	v_and_or_b32 v8, 0xffe, v11, v8
	v_med3_i32 v11, v13, 0, 13
	v_or_b32_e32 v13, 0x1000, v1
	v_med3_i32 v6, v6, 0, 13
	v_or_b32_e32 v14, 0x1000, v8
	v_lshrrev_b32_e32 v15, v11, v13
	v_lshrrev_b32_e32 v16, v6, v14
	v_lshlrev_b32_e32 v11, v11, v15
	v_lshlrev_b32_e32 v6, v6, v16
	v_cmp_ne_u32_e32 vcc_lo, v11, v13
	v_lshl_or_b32 v13, v10, 12, v1
	v_cndmask_b32_e64 v11, 0, 1, vcc_lo
	v_cmp_ne_u32_e32 vcc_lo, v6, v14
	v_lshl_or_b32 v14, v12, 12, v8
	v_or_b32_e32 v11, v15, v11
	v_cndmask_b32_e64 v6, 0, 1, vcc_lo
	v_cmp_gt_i32_e32 vcc_lo, 1, v10
	v_or_b32_e32 v6, v16, v6
	v_cndmask_b32_e32 v11, v13, v11, vcc_lo
	v_cmp_gt_i32_e32 vcc_lo, 1, v12
	v_and_b32_e32 v13, 7, v11
	v_cndmask_b32_e32 v6, v14, v6, vcc_lo
	v_cmp_ne_u32_e32 vcc_lo, 0, v1
	v_lshrrev_b32_e32 v11, 2, v11
	v_cmp_eq_u32_e64 s0, 3, v13
	v_and_b32_e32 v14, 7, v6
	v_cndmask_b32_e64 v1, 0, 1, vcc_lo
	v_cmp_ne_u32_e32 vcc_lo, 0, v8
	v_lshrrev_b32_e32 v6, 2, v6
	v_cmp_lt_i32_e64 s1, 5, v14
	v_cmp_eq_u32_e64 s2, 3, v14
	v_cndmask_b32_e64 v8, 0, 1, vcc_lo
	v_cmp_lt_i32_e32 vcc_lo, 5, v13
	v_lshl_or_b32 v1, v1, 9, 0x7c00
	v_lshl_or_b32 v8, v8, 9, 0x7c00
	s_or_b32 vcc_lo, s0, vcc_lo
	v_add_co_ci_u32_e32 v11, vcc_lo, 0, v11, vcc_lo
	s_or_b32 vcc_lo, s2, s1
	v_add_co_ci_u32_e32 v6, vcc_lo, 0, v6, vcc_lo
	v_cmp_gt_i32_e32 vcc_lo, 31, v10
	v_cndmask_b32_e32 v11, 0x7c00, v11, vcc_lo
	v_cmp_gt_i32_e32 vcc_lo, 31, v12
	v_cndmask_b32_e32 v6, 0x7c00, v6, vcc_lo
	v_cmp_eq_u32_e32 vcc_lo, 0x40f, v10
	v_cndmask_b32_e32 v1, v11, v1, vcc_lo
	v_cmp_eq_u32_e32 vcc_lo, 0x40f, v12
	v_and_or_b32 v1, 0x8000, v7, v1
	v_cndmask_b32_e32 v6, v6, v8, vcc_lo
	v_add_co_u32 v4, vcc_lo, v4, s4
	v_add_co_ci_u32_e32 v5, vcc_lo, s3, v5, vcc_lo
	v_and_or_b32 v6, 0x8000, v9, v6
	v_and_b32_e32 v1, 0xffff, v1
	v_lshl_or_b32 v1, v6, 16, v1
	ds_read2_b32 v[6:7], v43 offset0:189 offset1:252
	global_store_dword v[4:5], v1, off
	global_load_dword v1, v43, s[8:9] offset:756
	s_waitcnt lgkmcnt(0)
	v_lshrrev_b32_e32 v8, 16, v6
	s_waitcnt vmcnt(0)
	v_mul_f16_sdwa v9, v8, v1 dst_sel:DWORD dst_unused:UNUSED_PAD src0_sel:DWORD src1_sel:WORD_1
	v_mul_f16_sdwa v10, v6, v1 dst_sel:DWORD dst_unused:UNUSED_PAD src0_sel:DWORD src1_sel:WORD_1
	v_fmac_f16_e32 v9, v6, v1
	v_fma_f16 v1, v1, v8, -v10
	v_cvt_f32_f16_e32 v6, v9
	v_cvt_f32_f16_e32 v1, v1
	v_cvt_f64_f32_e32 v[8:9], v6
	v_cvt_f64_f32_e32 v[10:11], v1
	v_mul_f64 v[8:9], v[8:9], s[12:13]
	v_mul_f64 v[10:11], v[10:11], s[12:13]
	v_and_or_b32 v1, 0x1ff, v9, v8
	v_and_or_b32 v10, 0x1ff, v11, v10
	v_lshrrev_b32_e32 v6, 8, v9
	v_bfe_u32 v8, v9, 20, 11
	v_lshrrev_b32_e32 v12, 8, v11
	v_cmp_ne_u32_e32 vcc_lo, 0, v1
	v_bfe_u32 v13, v11, 20, 11
	v_lshrrev_b32_e32 v9, 16, v9
	v_sub_nc_u32_e32 v14, 0x3f1, v8
	v_add_nc_u32_e32 v8, 0xfffffc10, v8
	v_cndmask_b32_e64 v1, 0, 1, vcc_lo
	v_cmp_ne_u32_e32 vcc_lo, 0, v10
	v_and_or_b32 v1, 0xffe, v6, v1
	v_cndmask_b32_e64 v10, 0, 1, vcc_lo
	v_sub_nc_u32_e32 v6, 0x3f1, v13
	v_add_nc_u32_e32 v13, 0xfffffc10, v13
	v_and_or_b32 v10, 0xffe, v12, v10
	v_med3_i32 v12, v14, 0, 13
	v_or_b32_e32 v14, 0x1000, v1
	v_med3_i32 v6, v6, 0, 13
	v_or_b32_e32 v15, 0x1000, v10
	v_lshrrev_b32_e32 v16, v12, v14
	v_lshrrev_b32_e32 v17, v6, v15
	v_lshlrev_b32_e32 v12, v12, v16
	v_lshlrev_b32_e32 v6, v6, v17
	v_cmp_ne_u32_e32 vcc_lo, v12, v14
	v_lshl_or_b32 v14, v8, 12, v1
	v_cndmask_b32_e64 v12, 0, 1, vcc_lo
	v_cmp_ne_u32_e32 vcc_lo, v6, v15
	v_lshl_or_b32 v15, v13, 12, v10
	v_or_b32_e32 v12, v16, v12
	v_cndmask_b32_e64 v6, 0, 1, vcc_lo
	v_cmp_gt_i32_e32 vcc_lo, 1, v8
	v_or_b32_e32 v6, v17, v6
	v_cndmask_b32_e32 v12, v14, v12, vcc_lo
	v_cmp_gt_i32_e32 vcc_lo, 1, v13
	v_and_b32_e32 v14, 7, v12
	v_cndmask_b32_e32 v6, v15, v6, vcc_lo
	v_cmp_ne_u32_e32 vcc_lo, 0, v1
	v_lshrrev_b32_e32 v12, 2, v12
	v_cmp_eq_u32_e64 s0, 3, v14
	v_and_b32_e32 v15, 7, v6
	v_cndmask_b32_e64 v1, 0, 1, vcc_lo
	v_cmp_ne_u32_e32 vcc_lo, 0, v10
	v_lshrrev_b32_e32 v6, 2, v6
	v_cmp_lt_i32_e64 s1, 5, v15
	v_cmp_eq_u32_e64 s2, 3, v15
	v_cndmask_b32_e64 v10, 0, 1, vcc_lo
	v_cmp_lt_i32_e32 vcc_lo, 5, v14
	v_lshl_or_b32 v1, v1, 9, 0x7c00
	v_lshl_or_b32 v10, v10, 9, 0x7c00
	s_or_b32 vcc_lo, s0, vcc_lo
	v_add_co_ci_u32_e32 v12, vcc_lo, 0, v12, vcc_lo
	s_or_b32 vcc_lo, s2, s1
	v_add_co_ci_u32_e32 v6, vcc_lo, 0, v6, vcc_lo
	v_cmp_gt_i32_e32 vcc_lo, 31, v8
	v_cndmask_b32_e32 v12, 0x7c00, v12, vcc_lo
	v_cmp_gt_i32_e32 vcc_lo, 31, v13
	v_cndmask_b32_e32 v6, 0x7c00, v6, vcc_lo
	v_cmp_eq_u32_e32 vcc_lo, 0x40f, v8
	v_lshrrev_b32_e32 v8, 16, v11
	v_cndmask_b32_e32 v1, v12, v1, vcc_lo
	v_cmp_eq_u32_e32 vcc_lo, 0x40f, v13
	v_and_or_b32 v1, 0x8000, v9, v1
	v_cndmask_b32_e32 v6, v6, v10, vcc_lo
	v_add_co_u32 v4, vcc_lo, v4, s4
	v_add_co_ci_u32_e32 v5, vcc_lo, s3, v5, vcc_lo
	v_and_or_b32 v6, 0x8000, v8, v6
	v_and_b32_e32 v1, 0xffff, v1
	v_lshl_or_b32 v1, v6, 16, v1
	v_lshrrev_b32_e32 v6, 16, v7
	global_store_dword v[4:5], v1, off
	global_load_dword v1, v43, s[8:9] offset:1008
	s_waitcnt vmcnt(0)
	v_mul_f16_sdwa v8, v6, v1 dst_sel:DWORD dst_unused:UNUSED_PAD src0_sel:DWORD src1_sel:WORD_1
	v_mul_f16_sdwa v9, v7, v1 dst_sel:DWORD dst_unused:UNUSED_PAD src0_sel:DWORD src1_sel:WORD_1
	v_fmac_f16_e32 v8, v7, v1
	v_fma_f16 v1, v1, v6, -v9
	v_cvt_f32_f16_e32 v6, v8
	v_cvt_f32_f16_e32 v1, v1
	v_cvt_f64_f32_e32 v[6:7], v6
	v_cvt_f64_f32_e32 v[8:9], v1
	v_mul_f64 v[6:7], v[6:7], s[12:13]
	v_mul_f64 v[8:9], v[8:9], s[12:13]
	v_and_or_b32 v1, 0x1ff, v7, v6
	v_and_or_b32 v8, 0x1ff, v9, v8
	v_lshrrev_b32_e32 v6, 8, v7
	v_bfe_u32 v10, v7, 20, 11
	v_lshrrev_b32_e32 v11, 8, v9
	v_cmp_ne_u32_e32 vcc_lo, 0, v1
	v_bfe_u32 v12, v9, 20, 11
	v_lshrrev_b32_e32 v7, 16, v7
	v_sub_nc_u32_e32 v13, 0x3f1, v10
	v_add_nc_u32_e32 v10, 0xfffffc10, v10
	v_cndmask_b32_e64 v1, 0, 1, vcc_lo
	v_cmp_ne_u32_e32 vcc_lo, 0, v8
	v_lshrrev_b32_e32 v9, 16, v9
	v_and_or_b32 v1, 0xffe, v6, v1
	v_cndmask_b32_e64 v8, 0, 1, vcc_lo
	v_sub_nc_u32_e32 v6, 0x3f1, v12
	v_add_nc_u32_e32 v12, 0xfffffc10, v12
	v_and_or_b32 v8, 0xffe, v11, v8
	v_med3_i32 v11, v13, 0, 13
	v_or_b32_e32 v13, 0x1000, v1
	v_med3_i32 v6, v6, 0, 13
	v_or_b32_e32 v14, 0x1000, v8
	v_lshrrev_b32_e32 v15, v11, v13
	v_lshrrev_b32_e32 v16, v6, v14
	v_lshlrev_b32_e32 v11, v11, v15
	v_lshlrev_b32_e32 v6, v6, v16
	v_cmp_ne_u32_e32 vcc_lo, v11, v13
	v_lshl_or_b32 v13, v10, 12, v1
	v_cndmask_b32_e64 v11, 0, 1, vcc_lo
	v_cmp_ne_u32_e32 vcc_lo, v6, v14
	v_lshl_or_b32 v14, v12, 12, v8
	v_or_b32_e32 v11, v15, v11
	v_cndmask_b32_e64 v6, 0, 1, vcc_lo
	v_cmp_gt_i32_e32 vcc_lo, 1, v10
	v_or_b32_e32 v6, v16, v6
	v_cndmask_b32_e32 v11, v13, v11, vcc_lo
	v_cmp_gt_i32_e32 vcc_lo, 1, v12
	v_and_b32_e32 v13, 7, v11
	v_cndmask_b32_e32 v6, v14, v6, vcc_lo
	v_cmp_ne_u32_e32 vcc_lo, 0, v1
	v_lshrrev_b32_e32 v11, 2, v11
	v_cmp_eq_u32_e64 s0, 3, v13
	v_and_b32_e32 v14, 7, v6
	v_cndmask_b32_e64 v1, 0, 1, vcc_lo
	v_cmp_ne_u32_e32 vcc_lo, 0, v8
	v_lshrrev_b32_e32 v6, 2, v6
	v_cmp_lt_i32_e64 s1, 5, v14
	v_cmp_eq_u32_e64 s2, 3, v14
	v_cndmask_b32_e64 v8, 0, 1, vcc_lo
	v_cmp_lt_i32_e32 vcc_lo, 5, v13
	v_lshl_or_b32 v1, v1, 9, 0x7c00
	v_lshl_or_b32 v8, v8, 9, 0x7c00
	s_or_b32 vcc_lo, s0, vcc_lo
	v_add_co_ci_u32_e32 v11, vcc_lo, 0, v11, vcc_lo
	s_or_b32 vcc_lo, s2, s1
	v_add_co_ci_u32_e32 v6, vcc_lo, 0, v6, vcc_lo
	v_cmp_gt_i32_e32 vcc_lo, 31, v10
	v_cndmask_b32_e32 v11, 0x7c00, v11, vcc_lo
	v_cmp_gt_i32_e32 vcc_lo, 31, v12
	v_cndmask_b32_e32 v6, 0x7c00, v6, vcc_lo
	v_cmp_eq_u32_e32 vcc_lo, 0x40f, v10
	v_cndmask_b32_e32 v1, v11, v1, vcc_lo
	v_cmp_eq_u32_e32 vcc_lo, 0x40f, v12
	v_and_or_b32 v1, 0x8000, v7, v1
	v_cndmask_b32_e32 v6, v6, v8, vcc_lo
	v_add_co_u32 v4, vcc_lo, v4, s4
	v_add_co_ci_u32_e32 v5, vcc_lo, s3, v5, vcc_lo
	v_and_or_b32 v6, 0x8000, v9, v6
	v_and_b32_e32 v1, 0xffff, v1
	v_lshl_or_b32 v1, v6, 16, v1
	ds_read2_b32 v[6:7], v0 offset0:59 offset1:122
	global_store_dword v[4:5], v1, off
	global_load_dword v1, v43, s[8:9] offset:1260
	s_waitcnt lgkmcnt(0)
	v_lshrrev_b32_e32 v8, 16, v6
	s_waitcnt vmcnt(0)
	v_mul_f16_sdwa v9, v8, v1 dst_sel:DWORD dst_unused:UNUSED_PAD src0_sel:DWORD src1_sel:WORD_1
	v_mul_f16_sdwa v10, v6, v1 dst_sel:DWORD dst_unused:UNUSED_PAD src0_sel:DWORD src1_sel:WORD_1
	v_fmac_f16_e32 v9, v6, v1
	v_fma_f16 v1, v1, v8, -v10
	v_cvt_f32_f16_e32 v6, v9
	v_cvt_f32_f16_e32 v1, v1
	v_cvt_f64_f32_e32 v[8:9], v6
	v_cvt_f64_f32_e32 v[10:11], v1
	v_mul_f64 v[8:9], v[8:9], s[12:13]
	v_mul_f64 v[10:11], v[10:11], s[12:13]
	v_and_or_b32 v1, 0x1ff, v9, v8
	v_and_or_b32 v10, 0x1ff, v11, v10
	v_lshrrev_b32_e32 v6, 8, v9
	v_bfe_u32 v8, v9, 20, 11
	v_lshrrev_b32_e32 v12, 8, v11
	v_cmp_ne_u32_e32 vcc_lo, 0, v1
	v_bfe_u32 v13, v11, 20, 11
	v_lshrrev_b32_e32 v9, 16, v9
	v_sub_nc_u32_e32 v14, 0x3f1, v8
	v_add_nc_u32_e32 v8, 0xfffffc10, v8
	v_cndmask_b32_e64 v1, 0, 1, vcc_lo
	v_cmp_ne_u32_e32 vcc_lo, 0, v10
	v_and_or_b32 v1, 0xffe, v6, v1
	v_cndmask_b32_e64 v10, 0, 1, vcc_lo
	v_sub_nc_u32_e32 v6, 0x3f1, v13
	v_add_nc_u32_e32 v13, 0xfffffc10, v13
	v_and_or_b32 v10, 0xffe, v12, v10
	v_med3_i32 v12, v14, 0, 13
	v_or_b32_e32 v14, 0x1000, v1
	v_med3_i32 v6, v6, 0, 13
	v_or_b32_e32 v15, 0x1000, v10
	v_lshrrev_b32_e32 v16, v12, v14
	v_lshrrev_b32_e32 v17, v6, v15
	v_lshlrev_b32_e32 v12, v12, v16
	v_lshlrev_b32_e32 v6, v6, v17
	v_cmp_ne_u32_e32 vcc_lo, v12, v14
	v_lshl_or_b32 v14, v8, 12, v1
	v_cndmask_b32_e64 v12, 0, 1, vcc_lo
	v_cmp_ne_u32_e32 vcc_lo, v6, v15
	v_lshl_or_b32 v15, v13, 12, v10
	v_or_b32_e32 v12, v16, v12
	v_cndmask_b32_e64 v6, 0, 1, vcc_lo
	v_cmp_gt_i32_e32 vcc_lo, 1, v8
	v_or_b32_e32 v6, v17, v6
	v_cndmask_b32_e32 v12, v14, v12, vcc_lo
	v_cmp_gt_i32_e32 vcc_lo, 1, v13
	v_and_b32_e32 v14, 7, v12
	v_cndmask_b32_e32 v6, v15, v6, vcc_lo
	v_cmp_ne_u32_e32 vcc_lo, 0, v1
	v_lshrrev_b32_e32 v12, 2, v12
	v_cmp_eq_u32_e64 s0, 3, v14
	v_and_b32_e32 v15, 7, v6
	v_cndmask_b32_e64 v1, 0, 1, vcc_lo
	v_cmp_ne_u32_e32 vcc_lo, 0, v10
	v_lshrrev_b32_e32 v6, 2, v6
	v_cmp_lt_i32_e64 s1, 5, v15
	v_cmp_eq_u32_e64 s2, 3, v15
	v_cndmask_b32_e64 v10, 0, 1, vcc_lo
	v_cmp_lt_i32_e32 vcc_lo, 5, v14
	v_lshl_or_b32 v1, v1, 9, 0x7c00
	v_lshl_or_b32 v10, v10, 9, 0x7c00
	s_or_b32 vcc_lo, s0, vcc_lo
	v_add_co_ci_u32_e32 v12, vcc_lo, 0, v12, vcc_lo
	s_or_b32 vcc_lo, s2, s1
	v_add_co_ci_u32_e32 v6, vcc_lo, 0, v6, vcc_lo
	v_cmp_gt_i32_e32 vcc_lo, 31, v8
	v_cndmask_b32_e32 v12, 0x7c00, v12, vcc_lo
	v_cmp_gt_i32_e32 vcc_lo, 31, v13
	v_cndmask_b32_e32 v6, 0x7c00, v6, vcc_lo
	v_cmp_eq_u32_e32 vcc_lo, 0x40f, v8
	v_lshrrev_b32_e32 v8, 16, v11
	v_cndmask_b32_e32 v1, v12, v1, vcc_lo
	v_cmp_eq_u32_e32 vcc_lo, 0x40f, v13
	v_and_or_b32 v1, 0x8000, v9, v1
	v_cndmask_b32_e32 v6, v6, v10, vcc_lo
	v_add_co_u32 v4, vcc_lo, v4, s4
	v_add_co_ci_u32_e32 v5, vcc_lo, s3, v5, vcc_lo
	v_and_or_b32 v6, 0x8000, v8, v6
	v_and_b32_e32 v1, 0xffff, v1
	v_lshl_or_b32 v1, v6, 16, v1
	v_lshrrev_b32_e32 v6, 16, v7
	global_store_dword v[4:5], v1, off
	global_load_dword v1, v43, s[8:9] offset:1512
	s_waitcnt vmcnt(0)
	v_mul_f16_sdwa v8, v6, v1 dst_sel:DWORD dst_unused:UNUSED_PAD src0_sel:DWORD src1_sel:WORD_1
	v_mul_f16_sdwa v9, v7, v1 dst_sel:DWORD dst_unused:UNUSED_PAD src0_sel:DWORD src1_sel:WORD_1
	v_fmac_f16_e32 v8, v7, v1
	v_fma_f16 v1, v1, v6, -v9
	v_cvt_f32_f16_e32 v6, v8
	v_cvt_f32_f16_e32 v1, v1
	v_cvt_f64_f32_e32 v[6:7], v6
	v_cvt_f64_f32_e32 v[8:9], v1
	v_mul_f64 v[6:7], v[6:7], s[12:13]
	v_mul_f64 v[8:9], v[8:9], s[12:13]
	v_and_or_b32 v1, 0x1ff, v7, v6
	v_and_or_b32 v8, 0x1ff, v9, v8
	v_lshrrev_b32_e32 v6, 8, v7
	v_bfe_u32 v10, v7, 20, 11
	v_lshrrev_b32_e32 v11, 8, v9
	v_cmp_ne_u32_e32 vcc_lo, 0, v1
	v_bfe_u32 v12, v9, 20, 11
	v_lshrrev_b32_e32 v7, 16, v7
	v_sub_nc_u32_e32 v13, 0x3f1, v10
	v_add_nc_u32_e32 v10, 0xfffffc10, v10
	v_cndmask_b32_e64 v1, 0, 1, vcc_lo
	v_cmp_ne_u32_e32 vcc_lo, 0, v8
	v_lshrrev_b32_e32 v9, 16, v9
	v_and_or_b32 v1, 0xffe, v6, v1
	v_cndmask_b32_e64 v8, 0, 1, vcc_lo
	v_sub_nc_u32_e32 v6, 0x3f1, v12
	v_add_nc_u32_e32 v12, 0xfffffc10, v12
	v_and_or_b32 v8, 0xffe, v11, v8
	v_med3_i32 v11, v13, 0, 13
	v_or_b32_e32 v13, 0x1000, v1
	v_med3_i32 v6, v6, 0, 13
	v_or_b32_e32 v14, 0x1000, v8
	v_lshrrev_b32_e32 v15, v11, v13
	v_lshrrev_b32_e32 v16, v6, v14
	v_lshlrev_b32_e32 v11, v11, v15
	v_lshlrev_b32_e32 v6, v6, v16
	v_cmp_ne_u32_e32 vcc_lo, v11, v13
	v_lshl_or_b32 v13, v10, 12, v1
	v_cndmask_b32_e64 v11, 0, 1, vcc_lo
	v_cmp_ne_u32_e32 vcc_lo, v6, v14
	v_lshl_or_b32 v14, v12, 12, v8
	v_or_b32_e32 v11, v15, v11
	v_cndmask_b32_e64 v6, 0, 1, vcc_lo
	v_cmp_gt_i32_e32 vcc_lo, 1, v10
	v_or_b32_e32 v6, v16, v6
	v_cndmask_b32_e32 v11, v13, v11, vcc_lo
	v_cmp_gt_i32_e32 vcc_lo, 1, v12
	v_and_b32_e32 v13, 7, v11
	v_cndmask_b32_e32 v6, v14, v6, vcc_lo
	v_cmp_ne_u32_e32 vcc_lo, 0, v1
	v_lshrrev_b32_e32 v11, 2, v11
	v_cmp_eq_u32_e64 s0, 3, v13
	v_and_b32_e32 v14, 7, v6
	v_cndmask_b32_e64 v1, 0, 1, vcc_lo
	v_cmp_ne_u32_e32 vcc_lo, 0, v8
	v_lshrrev_b32_e32 v6, 2, v6
	v_cmp_lt_i32_e64 s1, 5, v14
	v_cmp_eq_u32_e64 s2, 3, v14
	v_cndmask_b32_e64 v8, 0, 1, vcc_lo
	v_cmp_lt_i32_e32 vcc_lo, 5, v13
	v_lshl_or_b32 v1, v1, 9, 0x7c00
	v_lshl_or_b32 v8, v8, 9, 0x7c00
	s_or_b32 vcc_lo, s0, vcc_lo
	v_add_co_ci_u32_e32 v11, vcc_lo, 0, v11, vcc_lo
	s_or_b32 vcc_lo, s2, s1
	v_add_co_ci_u32_e32 v6, vcc_lo, 0, v6, vcc_lo
	v_cmp_gt_i32_e32 vcc_lo, 31, v10
	v_cndmask_b32_e32 v11, 0x7c00, v11, vcc_lo
	v_cmp_gt_i32_e32 vcc_lo, 31, v12
	v_cndmask_b32_e32 v6, 0x7c00, v6, vcc_lo
	v_cmp_eq_u32_e32 vcc_lo, 0x40f, v10
	v_cndmask_b32_e32 v1, v11, v1, vcc_lo
	v_cmp_eq_u32_e32 vcc_lo, 0x40f, v12
	v_and_or_b32 v1, 0x8000, v7, v1
	v_cndmask_b32_e32 v6, v6, v8, vcc_lo
	v_add_co_u32 v4, vcc_lo, v4, s4
	v_add_co_ci_u32_e32 v5, vcc_lo, s3, v5, vcc_lo
	v_and_or_b32 v6, 0x8000, v9, v6
	v_and_b32_e32 v1, 0xffff, v1
	v_lshl_or_b32 v1, v6, 16, v1
	global_store_dword v[4:5], v1, off
	global_load_dword v6, v43, s[8:9] offset:1764
	ds_read2_b32 v[0:1], v0 offset0:185 offset1:248
	s_waitcnt lgkmcnt(0)
	v_lshrrev_b32_e32 v7, 16, v0
	s_waitcnt vmcnt(0)
	v_mul_f16_sdwa v8, v7, v6 dst_sel:DWORD dst_unused:UNUSED_PAD src0_sel:DWORD src1_sel:WORD_1
	v_mul_f16_sdwa v9, v0, v6 dst_sel:DWORD dst_unused:UNUSED_PAD src0_sel:DWORD src1_sel:WORD_1
	v_fmac_f16_e32 v8, v0, v6
	v_fma_f16 v0, v6, v7, -v9
	v_cvt_f32_f16_e32 v6, v8
	v_cvt_f32_f16_e32 v0, v0
	v_cvt_f64_f32_e32 v[6:7], v6
	v_cvt_f64_f32_e32 v[8:9], v0
	v_mul_f64 v[6:7], v[6:7], s[12:13]
	v_mul_f64 v[8:9], v[8:9], s[12:13]
	v_and_or_b32 v0, 0x1ff, v7, v6
	v_and_or_b32 v8, 0x1ff, v9, v8
	v_lshrrev_b32_e32 v6, 8, v7
	v_bfe_u32 v10, v7, 20, 11
	v_lshrrev_b32_e32 v11, 8, v9
	v_cmp_ne_u32_e32 vcc_lo, 0, v0
	v_bfe_u32 v12, v9, 20, 11
	v_lshrrev_b32_e32 v7, 16, v7
	v_sub_nc_u32_e32 v13, 0x3f1, v10
	v_add_nc_u32_e32 v10, 0xfffffc10, v10
	v_cndmask_b32_e64 v0, 0, 1, vcc_lo
	v_cmp_ne_u32_e32 vcc_lo, 0, v8
	v_lshrrev_b32_e32 v9, 16, v9
	v_and_or_b32 v0, 0xffe, v6, v0
	v_cndmask_b32_e64 v8, 0, 1, vcc_lo
	v_sub_nc_u32_e32 v6, 0x3f1, v12
	v_add_nc_u32_e32 v12, 0xfffffc10, v12
	v_and_or_b32 v8, 0xffe, v11, v8
	v_med3_i32 v11, v13, 0, 13
	v_or_b32_e32 v13, 0x1000, v0
	v_med3_i32 v6, v6, 0, 13
	v_or_b32_e32 v14, 0x1000, v8
	v_lshrrev_b32_e32 v15, v11, v13
	v_lshrrev_b32_e32 v16, v6, v14
	v_lshlrev_b32_e32 v11, v11, v15
	v_lshlrev_b32_e32 v6, v6, v16
	v_cmp_ne_u32_e32 vcc_lo, v11, v13
	v_lshl_or_b32 v13, v10, 12, v0
	v_cndmask_b32_e64 v11, 0, 1, vcc_lo
	v_cmp_ne_u32_e32 vcc_lo, v6, v14
	v_lshl_or_b32 v14, v12, 12, v8
	v_or_b32_e32 v11, v15, v11
	v_cndmask_b32_e64 v6, 0, 1, vcc_lo
	v_cmp_gt_i32_e32 vcc_lo, 1, v10
	v_or_b32_e32 v6, v16, v6
	v_cndmask_b32_e32 v11, v13, v11, vcc_lo
	v_cmp_gt_i32_e32 vcc_lo, 1, v12
	v_and_b32_e32 v13, 7, v11
	v_cndmask_b32_e32 v6, v14, v6, vcc_lo
	v_cmp_ne_u32_e32 vcc_lo, 0, v0
	v_lshrrev_b32_e32 v11, 2, v11
	v_cmp_eq_u32_e64 s0, 3, v13
	v_and_b32_e32 v14, 7, v6
	v_cndmask_b32_e64 v0, 0, 1, vcc_lo
	v_cmp_ne_u32_e32 vcc_lo, 0, v8
	v_lshrrev_b32_e32 v6, 2, v6
	v_cmp_lt_i32_e64 s1, 5, v14
	v_cmp_eq_u32_e64 s2, 3, v14
	v_cndmask_b32_e64 v8, 0, 1, vcc_lo
	v_cmp_lt_i32_e32 vcc_lo, 5, v13
	v_lshl_or_b32 v0, v0, 9, 0x7c00
	v_lshl_or_b32 v8, v8, 9, 0x7c00
	s_or_b32 vcc_lo, s0, vcc_lo
	v_add_co_ci_u32_e32 v11, vcc_lo, 0, v11, vcc_lo
	s_or_b32 vcc_lo, s2, s1
	v_add_co_ci_u32_e32 v6, vcc_lo, 0, v6, vcc_lo
	v_cmp_gt_i32_e32 vcc_lo, 31, v10
	v_cndmask_b32_e32 v11, 0x7c00, v11, vcc_lo
	v_cmp_gt_i32_e32 vcc_lo, 31, v12
	v_cndmask_b32_e32 v6, 0x7c00, v6, vcc_lo
	v_cmp_eq_u32_e32 vcc_lo, 0x40f, v10
	v_cndmask_b32_e32 v0, v11, v0, vcc_lo
	v_cmp_eq_u32_e32 vcc_lo, 0x40f, v12
	v_and_or_b32 v0, 0x8000, v7, v0
	v_cndmask_b32_e32 v6, v6, v8, vcc_lo
	v_add_co_u32 v4, vcc_lo, v4, s4
	v_add_co_ci_u32_e32 v5, vcc_lo, s3, v5, vcc_lo
	v_and_or_b32 v6, 0x8000, v9, v6
	v_and_b32_e32 v0, 0xffff, v0
	v_lshl_or_b32 v0, v6, 16, v0
	v_lshrrev_b32_e32 v6, 16, v1
	global_store_dword v[4:5], v0, off
	global_load_dword v0, v43, s[8:9] offset:2016
	s_waitcnt vmcnt(0)
	v_mul_f16_sdwa v7, v6, v0 dst_sel:DWORD dst_unused:UNUSED_PAD src0_sel:DWORD src1_sel:WORD_1
	v_mul_f16_sdwa v8, v1, v0 dst_sel:DWORD dst_unused:UNUSED_PAD src0_sel:DWORD src1_sel:WORD_1
	v_fmac_f16_e32 v7, v1, v0
	v_fma_f16 v0, v0, v6, -v8
	v_cvt_f32_f16_e32 v1, v7
	v_cvt_f32_f16_e32 v6, v0
	v_cvt_f64_f32_e32 v[0:1], v1
	v_cvt_f64_f32_e32 v[6:7], v6
	v_mul_f64 v[0:1], v[0:1], s[12:13]
	v_mul_f64 v[6:7], v[6:7], s[12:13]
	v_and_or_b32 v0, 0x1ff, v1, v0
	v_and_or_b32 v6, 0x1ff, v7, v6
	v_lshrrev_b32_e32 v8, 8, v1
	v_bfe_u32 v9, v1, 20, 11
	v_lshrrev_b32_e32 v10, 8, v7
	v_cmp_ne_u32_e32 vcc_lo, 0, v0
	v_bfe_u32 v11, v7, 20, 11
	v_lshrrev_b32_e32 v1, 16, v1
	v_sub_nc_u32_e32 v12, 0x3f1, v9
	v_add_nc_u32_e32 v9, 0xfffffc10, v9
	v_cndmask_b32_e64 v0, 0, 1, vcc_lo
	v_cmp_ne_u32_e32 vcc_lo, 0, v6
	v_lshrrev_b32_e32 v7, 16, v7
	v_and_or_b32 v0, 0xffe, v8, v0
	v_cndmask_b32_e64 v6, 0, 1, vcc_lo
	v_sub_nc_u32_e32 v8, 0x3f1, v11
	v_add_nc_u32_e32 v11, 0xfffffc10, v11
	v_and_or_b32 v6, 0xffe, v10, v6
	v_med3_i32 v10, v12, 0, 13
	v_or_b32_e32 v12, 0x1000, v0
	v_med3_i32 v8, v8, 0, 13
	v_or_b32_e32 v13, 0x1000, v6
	v_lshrrev_b32_e32 v14, v10, v12
	v_lshrrev_b32_e32 v15, v8, v13
	v_lshlrev_b32_e32 v10, v10, v14
	v_lshlrev_b32_e32 v8, v8, v15
	v_cmp_ne_u32_e32 vcc_lo, v10, v12
	v_lshl_or_b32 v12, v9, 12, v0
	v_cndmask_b32_e64 v10, 0, 1, vcc_lo
	v_cmp_ne_u32_e32 vcc_lo, v8, v13
	v_lshl_or_b32 v13, v11, 12, v6
	v_or_b32_e32 v10, v14, v10
	v_cndmask_b32_e64 v8, 0, 1, vcc_lo
	v_cmp_gt_i32_e32 vcc_lo, 1, v9
	v_or_b32_e32 v8, v15, v8
	v_cndmask_b32_e32 v10, v12, v10, vcc_lo
	v_cmp_gt_i32_e32 vcc_lo, 1, v11
	v_and_b32_e32 v12, 7, v10
	v_cndmask_b32_e32 v8, v13, v8, vcc_lo
	v_cmp_ne_u32_e32 vcc_lo, 0, v0
	v_lshrrev_b32_e32 v10, 2, v10
	v_cmp_eq_u32_e64 s0, 3, v12
	v_and_b32_e32 v13, 7, v8
	v_cndmask_b32_e64 v0, 0, 1, vcc_lo
	v_cmp_ne_u32_e32 vcc_lo, 0, v6
	v_lshrrev_b32_e32 v8, 2, v8
	v_cmp_lt_i32_e64 s1, 5, v13
	v_cmp_eq_u32_e64 s2, 3, v13
	v_cndmask_b32_e64 v6, 0, 1, vcc_lo
	v_cmp_lt_i32_e32 vcc_lo, 5, v12
	v_lshl_or_b32 v0, v0, 9, 0x7c00
	v_lshl_or_b32 v6, v6, 9, 0x7c00
	s_or_b32 vcc_lo, s0, vcc_lo
	v_add_co_ci_u32_e32 v10, vcc_lo, 0, v10, vcc_lo
	s_or_b32 vcc_lo, s2, s1
	v_add_co_ci_u32_e32 v8, vcc_lo, 0, v8, vcc_lo
	v_cmp_gt_i32_e32 vcc_lo, 31, v9
	v_cndmask_b32_e32 v10, 0x7c00, v10, vcc_lo
	v_cmp_gt_i32_e32 vcc_lo, 31, v11
	v_cndmask_b32_e32 v8, 0x7c00, v8, vcc_lo
	v_cmp_eq_u32_e32 vcc_lo, 0x40f, v9
	v_cndmask_b32_e32 v0, v10, v0, vcc_lo
	v_cmp_eq_u32_e32 vcc_lo, 0x40f, v11
	v_and_or_b32 v0, 0x8000, v1, v0
	v_cndmask_b32_e32 v6, v8, v6, vcc_lo
	v_add_co_u32 v1, s0, s8, v43
	v_add_co_ci_u32_e64 v8, null, s9, 0, s0
	v_and_or_b32 v6, 0x8000, v7, v6
	v_and_b32_e32 v0, 0xffff, v0
	v_add_co_u32 v4, vcc_lo, v4, s4
	v_add_co_ci_u32_e32 v5, vcc_lo, s3, v5, vcc_lo
	v_lshl_or_b32 v6, v6, 16, v0
	v_add_co_u32 v0, vcc_lo, 0x800, v1
	v_add_co_ci_u32_e32 v1, vcc_lo, 0, v8, vcc_lo
	global_store_dword v[4:5], v6, off
	ds_read2_b32 v[6:7], v3 offset0:55 offset1:118
	global_load_dword v8, v[0:1], off offset:220
	s_waitcnt lgkmcnt(0)
	v_lshrrev_b32_e32 v9, 16, v6
	s_waitcnt vmcnt(0)
	v_mul_f16_sdwa v10, v9, v8 dst_sel:DWORD dst_unused:UNUSED_PAD src0_sel:DWORD src1_sel:WORD_1
	v_mul_f16_sdwa v11, v6, v8 dst_sel:DWORD dst_unused:UNUSED_PAD src0_sel:DWORD src1_sel:WORD_1
	v_fmac_f16_e32 v10, v6, v8
	v_fma_f16 v6, v8, v9, -v11
	v_cvt_f32_f16_e32 v8, v10
	v_cvt_f32_f16_e32 v6, v6
	v_cvt_f64_f32_e32 v[8:9], v8
	v_cvt_f64_f32_e32 v[10:11], v6
	v_mul_f64 v[8:9], v[8:9], s[12:13]
	v_mul_f64 v[10:11], v[10:11], s[12:13]
	v_and_or_b32 v6, 0x1ff, v9, v8
	v_and_or_b32 v10, 0x1ff, v11, v10
	v_lshrrev_b32_e32 v8, 8, v9
	v_bfe_u32 v12, v9, 20, 11
	v_lshrrev_b32_e32 v13, 8, v11
	v_cmp_ne_u32_e32 vcc_lo, 0, v6
	v_bfe_u32 v14, v11, 20, 11
	v_lshrrev_b32_e32 v9, 16, v9
	v_sub_nc_u32_e32 v15, 0x3f1, v12
	v_add_nc_u32_e32 v12, 0xfffffc10, v12
	v_cndmask_b32_e64 v6, 0, 1, vcc_lo
	v_cmp_ne_u32_e32 vcc_lo, 0, v10
	v_lshrrev_b32_e32 v11, 16, v11
	v_and_or_b32 v6, 0xffe, v8, v6
	v_cndmask_b32_e64 v10, 0, 1, vcc_lo
	v_sub_nc_u32_e32 v8, 0x3f1, v14
	v_add_nc_u32_e32 v14, 0xfffffc10, v14
	v_and_or_b32 v10, 0xffe, v13, v10
	v_med3_i32 v13, v15, 0, 13
	v_or_b32_e32 v15, 0x1000, v6
	v_med3_i32 v8, v8, 0, 13
	v_or_b32_e32 v16, 0x1000, v10
	v_lshrrev_b32_e32 v17, v13, v15
	v_lshrrev_b32_e32 v18, v8, v16
	v_lshlrev_b32_e32 v13, v13, v17
	v_lshlrev_b32_e32 v8, v8, v18
	v_cmp_ne_u32_e32 vcc_lo, v13, v15
	v_lshl_or_b32 v15, v12, 12, v6
	v_cndmask_b32_e64 v13, 0, 1, vcc_lo
	v_cmp_ne_u32_e32 vcc_lo, v8, v16
	v_lshl_or_b32 v16, v14, 12, v10
	v_or_b32_e32 v13, v17, v13
	v_cndmask_b32_e64 v8, 0, 1, vcc_lo
	v_cmp_gt_i32_e32 vcc_lo, 1, v12
	v_or_b32_e32 v8, v18, v8
	v_cndmask_b32_e32 v13, v15, v13, vcc_lo
	v_cmp_gt_i32_e32 vcc_lo, 1, v14
	v_and_b32_e32 v15, 7, v13
	v_cndmask_b32_e32 v8, v16, v8, vcc_lo
	v_cmp_ne_u32_e32 vcc_lo, 0, v6
	v_lshrrev_b32_e32 v13, 2, v13
	v_cmp_eq_u32_e64 s0, 3, v15
	v_and_b32_e32 v16, 7, v8
	v_cndmask_b32_e64 v6, 0, 1, vcc_lo
	v_cmp_ne_u32_e32 vcc_lo, 0, v10
	v_lshrrev_b32_e32 v8, 2, v8
	v_cmp_lt_i32_e64 s1, 5, v16
	v_cmp_eq_u32_e64 s2, 3, v16
	v_cndmask_b32_e64 v10, 0, 1, vcc_lo
	v_cmp_lt_i32_e32 vcc_lo, 5, v15
	v_lshl_or_b32 v6, v6, 9, 0x7c00
	v_lshl_or_b32 v10, v10, 9, 0x7c00
	s_or_b32 vcc_lo, s0, vcc_lo
	v_add_co_ci_u32_e32 v13, vcc_lo, 0, v13, vcc_lo
	s_or_b32 vcc_lo, s2, s1
	v_add_co_ci_u32_e32 v8, vcc_lo, 0, v8, vcc_lo
	v_cmp_gt_i32_e32 vcc_lo, 31, v12
	v_cndmask_b32_e32 v13, 0x7c00, v13, vcc_lo
	v_cmp_gt_i32_e32 vcc_lo, 31, v14
	v_cndmask_b32_e32 v8, 0x7c00, v8, vcc_lo
	v_cmp_eq_u32_e32 vcc_lo, 0x40f, v12
	v_cndmask_b32_e32 v6, v13, v6, vcc_lo
	v_cmp_eq_u32_e32 vcc_lo, 0x40f, v14
	v_and_or_b32 v6, 0x8000, v9, v6
	v_cndmask_b32_e32 v8, v8, v10, vcc_lo
	v_add_co_u32 v4, vcc_lo, v4, s4
	v_add_co_ci_u32_e32 v5, vcc_lo, s3, v5, vcc_lo
	v_and_or_b32 v8, 0x8000, v11, v8
	v_and_b32_e32 v6, 0xffff, v6
	v_lshl_or_b32 v6, v8, 16, v6
	v_lshrrev_b32_e32 v8, 16, v7
	global_store_dword v[4:5], v6, off
	global_load_dword v6, v[0:1], off offset:472
	s_waitcnt vmcnt(0)
	v_mul_f16_sdwa v9, v8, v6 dst_sel:DWORD dst_unused:UNUSED_PAD src0_sel:DWORD src1_sel:WORD_1
	v_mul_f16_sdwa v10, v7, v6 dst_sel:DWORD dst_unused:UNUSED_PAD src0_sel:DWORD src1_sel:WORD_1
	v_fmac_f16_e32 v9, v7, v6
	v_fma_f16 v6, v6, v8, -v10
	v_cvt_f32_f16_e32 v7, v9
	v_cvt_f32_f16_e32 v8, v6
	v_cvt_f64_f32_e32 v[6:7], v7
	v_cvt_f64_f32_e32 v[8:9], v8
	v_mul_f64 v[6:7], v[6:7], s[12:13]
	v_mul_f64 v[8:9], v[8:9], s[12:13]
	v_and_or_b32 v6, 0x1ff, v7, v6
	v_and_or_b32 v8, 0x1ff, v9, v8
	v_lshrrev_b32_e32 v10, 8, v7
	v_bfe_u32 v11, v7, 20, 11
	v_lshrrev_b32_e32 v12, 8, v9
	v_cmp_ne_u32_e32 vcc_lo, 0, v6
	v_bfe_u32 v13, v9, 20, 11
	v_lshrrev_b32_e32 v7, 16, v7
	v_sub_nc_u32_e32 v14, 0x3f1, v11
	v_add_nc_u32_e32 v11, 0xfffffc10, v11
	v_cndmask_b32_e64 v6, 0, 1, vcc_lo
	v_cmp_ne_u32_e32 vcc_lo, 0, v8
	v_lshrrev_b32_e32 v9, 16, v9
	v_and_or_b32 v6, 0xffe, v10, v6
	v_cndmask_b32_e64 v8, 0, 1, vcc_lo
	v_sub_nc_u32_e32 v10, 0x3f1, v13
	v_add_nc_u32_e32 v13, 0xfffffc10, v13
	v_and_or_b32 v8, 0xffe, v12, v8
	v_med3_i32 v12, v14, 0, 13
	v_or_b32_e32 v14, 0x1000, v6
	v_med3_i32 v10, v10, 0, 13
	v_or_b32_e32 v15, 0x1000, v8
	v_lshrrev_b32_e32 v16, v12, v14
	v_lshrrev_b32_e32 v17, v10, v15
	v_lshlrev_b32_e32 v12, v12, v16
	v_lshlrev_b32_e32 v10, v10, v17
	v_cmp_ne_u32_e32 vcc_lo, v12, v14
	v_lshl_or_b32 v14, v11, 12, v6
	v_cndmask_b32_e64 v12, 0, 1, vcc_lo
	v_cmp_ne_u32_e32 vcc_lo, v10, v15
	v_lshl_or_b32 v15, v13, 12, v8
	v_or_b32_e32 v12, v16, v12
	v_cndmask_b32_e64 v10, 0, 1, vcc_lo
	v_cmp_gt_i32_e32 vcc_lo, 1, v11
	v_or_b32_e32 v10, v17, v10
	v_cndmask_b32_e32 v12, v14, v12, vcc_lo
	v_cmp_gt_i32_e32 vcc_lo, 1, v13
	v_and_b32_e32 v14, 7, v12
	v_cndmask_b32_e32 v10, v15, v10, vcc_lo
	v_cmp_ne_u32_e32 vcc_lo, 0, v6
	v_lshrrev_b32_e32 v12, 2, v12
	v_cmp_eq_u32_e64 s0, 3, v14
	v_and_b32_e32 v15, 7, v10
	v_cndmask_b32_e64 v6, 0, 1, vcc_lo
	v_cmp_ne_u32_e32 vcc_lo, 0, v8
	v_lshrrev_b32_e32 v10, 2, v10
	v_cmp_lt_i32_e64 s1, 5, v15
	v_cmp_eq_u32_e64 s2, 3, v15
	v_cndmask_b32_e64 v8, 0, 1, vcc_lo
	v_cmp_lt_i32_e32 vcc_lo, 5, v14
	v_lshl_or_b32 v6, v6, 9, 0x7c00
	v_lshl_or_b32 v8, v8, 9, 0x7c00
	s_or_b32 vcc_lo, s0, vcc_lo
	v_add_co_ci_u32_e32 v12, vcc_lo, 0, v12, vcc_lo
	s_or_b32 vcc_lo, s2, s1
	v_add_co_ci_u32_e32 v10, vcc_lo, 0, v10, vcc_lo
	v_cmp_gt_i32_e32 vcc_lo, 31, v11
	v_cndmask_b32_e32 v12, 0x7c00, v12, vcc_lo
	v_cmp_gt_i32_e32 vcc_lo, 31, v13
	v_cndmask_b32_e32 v10, 0x7c00, v10, vcc_lo
	v_cmp_eq_u32_e32 vcc_lo, 0x40f, v11
	v_cndmask_b32_e32 v6, v12, v6, vcc_lo
	v_cmp_eq_u32_e32 vcc_lo, 0x40f, v13
	v_and_or_b32 v6, 0x8000, v7, v6
	v_cndmask_b32_e32 v8, v10, v8, vcc_lo
	v_add_co_u32 v4, vcc_lo, v4, s4
	v_add_co_ci_u32_e32 v5, vcc_lo, s3, v5, vcc_lo
	v_and_or_b32 v7, 0x8000, v9, v8
	v_and_b32_e32 v6, 0xffff, v6
	v_lshl_or_b32 v6, v7, 16, v6
	global_store_dword v[4:5], v6, off
	global_load_dword v8, v[0:1], off offset:724
	ds_read2_b32 v[6:7], v3 offset0:181 offset1:244
	s_waitcnt lgkmcnt(0)
	v_lshrrev_b32_e32 v3, 16, v6
	s_waitcnt vmcnt(0)
	v_mul_f16_sdwa v9, v3, v8 dst_sel:DWORD dst_unused:UNUSED_PAD src0_sel:DWORD src1_sel:WORD_1
	v_mul_f16_sdwa v10, v6, v8 dst_sel:DWORD dst_unused:UNUSED_PAD src0_sel:DWORD src1_sel:WORD_1
	v_fmac_f16_e32 v9, v6, v8
	v_fma_f16 v3, v8, v3, -v10
	v_cvt_f32_f16_e32 v6, v9
	v_cvt_f32_f16_e32 v3, v3
	v_cvt_f64_f32_e32 v[8:9], v6
	v_cvt_f64_f32_e32 v[10:11], v3
	v_mul_f64 v[8:9], v[8:9], s[12:13]
	v_mul_f64 v[10:11], v[10:11], s[12:13]
	v_and_or_b32 v3, 0x1ff, v9, v8
	v_and_or_b32 v10, 0x1ff, v11, v10
	v_lshrrev_b32_e32 v6, 8, v9
	v_bfe_u32 v8, v9, 20, 11
	v_lshrrev_b32_e32 v12, 8, v11
	v_cmp_ne_u32_e32 vcc_lo, 0, v3
	v_bfe_u32 v13, v11, 20, 11
	v_lshrrev_b32_e32 v9, 16, v9
	v_sub_nc_u32_e32 v14, 0x3f1, v8
	v_add_nc_u32_e32 v8, 0xfffffc10, v8
	v_cndmask_b32_e64 v3, 0, 1, vcc_lo
	v_cmp_ne_u32_e32 vcc_lo, 0, v10
	v_and_or_b32 v3, 0xffe, v6, v3
	v_cndmask_b32_e64 v10, 0, 1, vcc_lo
	v_sub_nc_u32_e32 v6, 0x3f1, v13
	v_add_nc_u32_e32 v13, 0xfffffc10, v13
	v_and_or_b32 v10, 0xffe, v12, v10
	v_med3_i32 v12, v14, 0, 13
	v_or_b32_e32 v14, 0x1000, v3
	v_med3_i32 v6, v6, 0, 13
	v_or_b32_e32 v15, 0x1000, v10
	v_lshrrev_b32_e32 v16, v12, v14
	v_lshrrev_b32_e32 v17, v6, v15
	v_lshlrev_b32_e32 v12, v12, v16
	v_lshlrev_b32_e32 v6, v6, v17
	v_cmp_ne_u32_e32 vcc_lo, v12, v14
	v_lshl_or_b32 v14, v8, 12, v3
	v_cndmask_b32_e64 v12, 0, 1, vcc_lo
	v_cmp_ne_u32_e32 vcc_lo, v6, v15
	v_lshl_or_b32 v15, v13, 12, v10
	v_or_b32_e32 v12, v16, v12
	v_cndmask_b32_e64 v6, 0, 1, vcc_lo
	v_cmp_gt_i32_e32 vcc_lo, 1, v8
	v_or_b32_e32 v6, v17, v6
	v_cndmask_b32_e32 v12, v14, v12, vcc_lo
	v_cmp_gt_i32_e32 vcc_lo, 1, v13
	v_and_b32_e32 v14, 7, v12
	v_cndmask_b32_e32 v6, v15, v6, vcc_lo
	v_cmp_ne_u32_e32 vcc_lo, 0, v3
	v_lshrrev_b32_e32 v12, 2, v12
	v_cmp_eq_u32_e64 s0, 3, v14
	v_and_b32_e32 v15, 7, v6
	v_cndmask_b32_e64 v3, 0, 1, vcc_lo
	v_cmp_ne_u32_e32 vcc_lo, 0, v10
	v_lshrrev_b32_e32 v6, 2, v6
	v_cmp_lt_i32_e64 s1, 5, v15
	v_cmp_eq_u32_e64 s2, 3, v15
	v_cndmask_b32_e64 v10, 0, 1, vcc_lo
	v_cmp_lt_i32_e32 vcc_lo, 5, v14
	v_lshl_or_b32 v3, v3, 9, 0x7c00
	v_lshl_or_b32 v10, v10, 9, 0x7c00
	s_or_b32 vcc_lo, s0, vcc_lo
	v_add_co_ci_u32_e32 v12, vcc_lo, 0, v12, vcc_lo
	s_or_b32 vcc_lo, s2, s1
	v_add_co_ci_u32_e32 v6, vcc_lo, 0, v6, vcc_lo
	v_cmp_gt_i32_e32 vcc_lo, 31, v8
	v_cndmask_b32_e32 v12, 0x7c00, v12, vcc_lo
	v_cmp_gt_i32_e32 vcc_lo, 31, v13
	v_cndmask_b32_e32 v6, 0x7c00, v6, vcc_lo
	v_cmp_eq_u32_e32 vcc_lo, 0x40f, v8
	v_lshrrev_b32_e32 v8, 16, v11
	v_cndmask_b32_e32 v3, v12, v3, vcc_lo
	v_cmp_eq_u32_e32 vcc_lo, 0x40f, v13
	v_and_or_b32 v3, 0x8000, v9, v3
	v_cndmask_b32_e32 v6, v6, v10, vcc_lo
	v_and_or_b32 v6, 0x8000, v8, v6
	v_and_b32_e32 v8, 0xffff, v3
	v_add_co_u32 v3, vcc_lo, v4, s4
	v_add_co_ci_u32_e32 v4, vcc_lo, s3, v5, vcc_lo
	v_lshl_or_b32 v5, v6, 16, v8
	v_lshrrev_b32_e32 v6, 16, v7
	global_store_dword v[3:4], v5, off
	global_load_dword v5, v[0:1], off offset:976
	s_waitcnt vmcnt(0)
	v_mul_f16_sdwa v8, v6, v5 dst_sel:DWORD dst_unused:UNUSED_PAD src0_sel:DWORD src1_sel:WORD_1
	v_mul_f16_sdwa v9, v7, v5 dst_sel:DWORD dst_unused:UNUSED_PAD src0_sel:DWORD src1_sel:WORD_1
	v_fmac_f16_e32 v8, v7, v5
	v_fma_f16 v5, v5, v6, -v9
	v_cvt_f32_f16_e32 v6, v8
	v_cvt_f32_f16_e32 v7, v5
	v_cvt_f64_f32_e32 v[5:6], v6
	v_cvt_f64_f32_e32 v[7:8], v7
	v_mul_f64 v[5:6], v[5:6], s[12:13]
	v_mul_f64 v[7:8], v[7:8], s[12:13]
	v_and_or_b32 v5, 0x1ff, v6, v5
	v_and_or_b32 v7, 0x1ff, v8, v7
	v_lshrrev_b32_e32 v9, 8, v6
	v_bfe_u32 v10, v6, 20, 11
	v_lshrrev_b32_e32 v11, 8, v8
	v_cmp_ne_u32_e32 vcc_lo, 0, v5
	v_bfe_u32 v12, v8, 20, 11
	v_lshrrev_b32_e32 v6, 16, v6
	v_sub_nc_u32_e32 v13, 0x3f1, v10
	v_add_nc_u32_e32 v10, 0xfffffc10, v10
	v_cndmask_b32_e64 v5, 0, 1, vcc_lo
	v_cmp_ne_u32_e32 vcc_lo, 0, v7
	v_lshrrev_b32_e32 v8, 16, v8
	v_and_or_b32 v5, 0xffe, v9, v5
	v_cndmask_b32_e64 v7, 0, 1, vcc_lo
	v_sub_nc_u32_e32 v9, 0x3f1, v12
	v_add_nc_u32_e32 v12, 0xfffffc10, v12
	v_and_or_b32 v7, 0xffe, v11, v7
	v_med3_i32 v11, v13, 0, 13
	v_or_b32_e32 v13, 0x1000, v5
	v_med3_i32 v9, v9, 0, 13
	v_or_b32_e32 v14, 0x1000, v7
	v_lshrrev_b32_e32 v15, v11, v13
	v_lshrrev_b32_e32 v16, v9, v14
	v_lshlrev_b32_e32 v11, v11, v15
	v_lshlrev_b32_e32 v9, v9, v16
	v_cmp_ne_u32_e32 vcc_lo, v11, v13
	v_lshl_or_b32 v13, v10, 12, v5
	v_cndmask_b32_e64 v11, 0, 1, vcc_lo
	v_cmp_ne_u32_e32 vcc_lo, v9, v14
	v_lshl_or_b32 v14, v12, 12, v7
	v_or_b32_e32 v11, v15, v11
	v_cndmask_b32_e64 v9, 0, 1, vcc_lo
	v_cmp_gt_i32_e32 vcc_lo, 1, v10
	v_or_b32_e32 v9, v16, v9
	v_cndmask_b32_e32 v11, v13, v11, vcc_lo
	v_cmp_gt_i32_e32 vcc_lo, 1, v12
	v_and_b32_e32 v13, 7, v11
	v_cndmask_b32_e32 v9, v14, v9, vcc_lo
	v_cmp_ne_u32_e32 vcc_lo, 0, v5
	v_lshrrev_b32_e32 v11, 2, v11
	v_cmp_eq_u32_e64 s0, 3, v13
	v_and_b32_e32 v14, 7, v9
	v_cndmask_b32_e64 v5, 0, 1, vcc_lo
	v_cmp_ne_u32_e32 vcc_lo, 0, v7
	v_lshrrev_b32_e32 v9, 2, v9
	v_cmp_lt_i32_e64 s1, 5, v14
	v_cmp_eq_u32_e64 s2, 3, v14
	v_cndmask_b32_e64 v7, 0, 1, vcc_lo
	v_cmp_lt_i32_e32 vcc_lo, 5, v13
	v_lshl_or_b32 v5, v5, 9, 0x7c00
	v_lshl_or_b32 v7, v7, 9, 0x7c00
	s_or_b32 vcc_lo, s0, vcc_lo
	v_add_co_ci_u32_e32 v11, vcc_lo, 0, v11, vcc_lo
	s_or_b32 vcc_lo, s2, s1
	v_add_co_ci_u32_e32 v9, vcc_lo, 0, v9, vcc_lo
	v_cmp_gt_i32_e32 vcc_lo, 31, v10
	v_cndmask_b32_e32 v11, 0x7c00, v11, vcc_lo
	v_cmp_gt_i32_e32 vcc_lo, 31, v12
	v_cndmask_b32_e32 v9, 0x7c00, v9, vcc_lo
	v_cmp_eq_u32_e32 vcc_lo, 0x40f, v10
	v_cndmask_b32_e32 v5, v11, v5, vcc_lo
	v_cmp_eq_u32_e32 vcc_lo, 0x40f, v12
	v_and_or_b32 v5, 0x8000, v6, v5
	v_cndmask_b32_e32 v7, v9, v7, vcc_lo
	v_add_co_u32 v3, vcc_lo, v3, s4
	v_add_co_ci_u32_e32 v4, vcc_lo, s3, v4, vcc_lo
	v_and_or_b32 v6, 0x8000, v8, v7
	v_and_b32_e32 v5, 0xffff, v5
	v_lshl_or_b32 v5, v6, 16, v5
	global_store_dword v[3:4], v5, off
	global_load_dword v7, v[0:1], off offset:1228
	ds_read2_b32 v[5:6], v2 offset0:51 offset1:114
	s_waitcnt lgkmcnt(0)
	v_lshrrev_b32_e32 v8, 16, v5
	s_waitcnt vmcnt(0)
	v_mul_f16_sdwa v9, v8, v7 dst_sel:DWORD dst_unused:UNUSED_PAD src0_sel:DWORD src1_sel:WORD_1
	v_mul_f16_sdwa v10, v5, v7 dst_sel:DWORD dst_unused:UNUSED_PAD src0_sel:DWORD src1_sel:WORD_1
	v_fmac_f16_e32 v9, v5, v7
	v_fma_f16 v5, v7, v8, -v10
	v_cvt_f32_f16_e32 v7, v9
	v_cvt_f32_f16_e32 v5, v5
	v_cvt_f64_f32_e32 v[7:8], v7
	v_cvt_f64_f32_e32 v[9:10], v5
	v_mul_f64 v[7:8], v[7:8], s[12:13]
	v_mul_f64 v[9:10], v[9:10], s[12:13]
	v_and_or_b32 v5, 0x1ff, v8, v7
	v_and_or_b32 v9, 0x1ff, v10, v9
	v_lshrrev_b32_e32 v7, 8, v8
	v_bfe_u32 v11, v8, 20, 11
	v_lshrrev_b32_e32 v12, 8, v10
	v_cmp_ne_u32_e32 vcc_lo, 0, v5
	v_bfe_u32 v13, v10, 20, 11
	v_lshrrev_b32_e32 v8, 16, v8
	v_sub_nc_u32_e32 v14, 0x3f1, v11
	v_add_nc_u32_e32 v11, 0xfffffc10, v11
	v_cndmask_b32_e64 v5, 0, 1, vcc_lo
	v_cmp_ne_u32_e32 vcc_lo, 0, v9
	v_lshrrev_b32_e32 v10, 16, v10
	v_and_or_b32 v5, 0xffe, v7, v5
	v_cndmask_b32_e64 v9, 0, 1, vcc_lo
	v_sub_nc_u32_e32 v7, 0x3f1, v13
	v_add_nc_u32_e32 v13, 0xfffffc10, v13
	v_and_or_b32 v9, 0xffe, v12, v9
	v_med3_i32 v12, v14, 0, 13
	v_or_b32_e32 v14, 0x1000, v5
	v_med3_i32 v7, v7, 0, 13
	v_or_b32_e32 v15, 0x1000, v9
	v_lshrrev_b32_e32 v16, v12, v14
	v_lshrrev_b32_e32 v17, v7, v15
	v_lshlrev_b32_e32 v12, v12, v16
	v_lshlrev_b32_e32 v7, v7, v17
	v_cmp_ne_u32_e32 vcc_lo, v12, v14
	v_lshl_or_b32 v14, v11, 12, v5
	v_cndmask_b32_e64 v12, 0, 1, vcc_lo
	v_cmp_ne_u32_e32 vcc_lo, v7, v15
	v_lshl_or_b32 v15, v13, 12, v9
	v_or_b32_e32 v12, v16, v12
	v_cndmask_b32_e64 v7, 0, 1, vcc_lo
	v_cmp_gt_i32_e32 vcc_lo, 1, v11
	v_or_b32_e32 v7, v17, v7
	v_cndmask_b32_e32 v12, v14, v12, vcc_lo
	v_cmp_gt_i32_e32 vcc_lo, 1, v13
	v_and_b32_e32 v14, 7, v12
	v_cndmask_b32_e32 v7, v15, v7, vcc_lo
	v_cmp_ne_u32_e32 vcc_lo, 0, v5
	v_lshrrev_b32_e32 v12, 2, v12
	v_cmp_eq_u32_e64 s0, 3, v14
	v_and_b32_e32 v15, 7, v7
	v_cndmask_b32_e64 v5, 0, 1, vcc_lo
	v_cmp_ne_u32_e32 vcc_lo, 0, v9
	v_lshrrev_b32_e32 v7, 2, v7
	v_cmp_lt_i32_e64 s1, 5, v15
	v_cmp_eq_u32_e64 s2, 3, v15
	v_cndmask_b32_e64 v9, 0, 1, vcc_lo
	v_cmp_lt_i32_e32 vcc_lo, 5, v14
	v_lshl_or_b32 v5, v5, 9, 0x7c00
	v_lshl_or_b32 v9, v9, 9, 0x7c00
	s_or_b32 vcc_lo, s0, vcc_lo
	v_add_co_ci_u32_e32 v12, vcc_lo, 0, v12, vcc_lo
	s_or_b32 vcc_lo, s2, s1
	v_add_co_ci_u32_e32 v7, vcc_lo, 0, v7, vcc_lo
	v_cmp_gt_i32_e32 vcc_lo, 31, v11
	v_cndmask_b32_e32 v12, 0x7c00, v12, vcc_lo
	v_cmp_gt_i32_e32 vcc_lo, 31, v13
	v_cndmask_b32_e32 v7, 0x7c00, v7, vcc_lo
	v_cmp_eq_u32_e32 vcc_lo, 0x40f, v11
	v_cndmask_b32_e32 v5, v12, v5, vcc_lo
	v_cmp_eq_u32_e32 vcc_lo, 0x40f, v13
	v_and_or_b32 v5, 0x8000, v8, v5
	v_cndmask_b32_e32 v7, v7, v9, vcc_lo
	v_add_co_u32 v3, vcc_lo, v3, s4
	v_add_co_ci_u32_e32 v4, vcc_lo, s3, v4, vcc_lo
	v_and_or_b32 v7, 0x8000, v10, v7
	v_and_b32_e32 v5, 0xffff, v5
	v_lshl_or_b32 v5, v7, 16, v5
	v_lshrrev_b32_e32 v7, 16, v6
	global_store_dword v[3:4], v5, off
	global_load_dword v5, v[0:1], off offset:1480
	s_waitcnt vmcnt(0)
	v_mul_f16_sdwa v8, v7, v5 dst_sel:DWORD dst_unused:UNUSED_PAD src0_sel:DWORD src1_sel:WORD_1
	v_mul_f16_sdwa v9, v6, v5 dst_sel:DWORD dst_unused:UNUSED_PAD src0_sel:DWORD src1_sel:WORD_1
	v_fmac_f16_e32 v8, v6, v5
	v_fma_f16 v5, v5, v7, -v9
	v_cvt_f32_f16_e32 v6, v8
	v_cvt_f32_f16_e32 v7, v5
	v_cvt_f64_f32_e32 v[5:6], v6
	v_cvt_f64_f32_e32 v[7:8], v7
	v_mul_f64 v[5:6], v[5:6], s[12:13]
	v_mul_f64 v[7:8], v[7:8], s[12:13]
	v_and_or_b32 v5, 0x1ff, v6, v5
	v_and_or_b32 v7, 0x1ff, v8, v7
	v_lshrrev_b32_e32 v9, 8, v6
	v_bfe_u32 v10, v6, 20, 11
	v_lshrrev_b32_e32 v11, 8, v8
	v_cmp_ne_u32_e32 vcc_lo, 0, v5
	v_bfe_u32 v12, v8, 20, 11
	v_lshrrev_b32_e32 v6, 16, v6
	v_sub_nc_u32_e32 v13, 0x3f1, v10
	v_add_nc_u32_e32 v10, 0xfffffc10, v10
	v_cndmask_b32_e64 v5, 0, 1, vcc_lo
	v_cmp_ne_u32_e32 vcc_lo, 0, v7
	v_lshrrev_b32_e32 v8, 16, v8
	v_and_or_b32 v5, 0xffe, v9, v5
	v_cndmask_b32_e64 v7, 0, 1, vcc_lo
	v_sub_nc_u32_e32 v9, 0x3f1, v12
	v_add_nc_u32_e32 v12, 0xfffffc10, v12
	v_and_or_b32 v7, 0xffe, v11, v7
	v_med3_i32 v11, v13, 0, 13
	v_or_b32_e32 v13, 0x1000, v5
	v_med3_i32 v9, v9, 0, 13
	v_or_b32_e32 v14, 0x1000, v7
	v_lshrrev_b32_e32 v15, v11, v13
	v_lshrrev_b32_e32 v16, v9, v14
	v_lshlrev_b32_e32 v11, v11, v15
	v_lshlrev_b32_e32 v9, v9, v16
	v_cmp_ne_u32_e32 vcc_lo, v11, v13
	v_lshl_or_b32 v13, v10, 12, v5
	v_cndmask_b32_e64 v11, 0, 1, vcc_lo
	v_cmp_ne_u32_e32 vcc_lo, v9, v14
	v_lshl_or_b32 v14, v12, 12, v7
	v_or_b32_e32 v11, v15, v11
	v_cndmask_b32_e64 v9, 0, 1, vcc_lo
	v_cmp_gt_i32_e32 vcc_lo, 1, v10
	v_or_b32_e32 v9, v16, v9
	v_cndmask_b32_e32 v11, v13, v11, vcc_lo
	v_cmp_gt_i32_e32 vcc_lo, 1, v12
	v_and_b32_e32 v13, 7, v11
	v_cndmask_b32_e32 v9, v14, v9, vcc_lo
	v_cmp_ne_u32_e32 vcc_lo, 0, v5
	v_lshrrev_b32_e32 v11, 2, v11
	v_cmp_eq_u32_e64 s0, 3, v13
	v_and_b32_e32 v14, 7, v9
	v_cndmask_b32_e64 v5, 0, 1, vcc_lo
	v_cmp_ne_u32_e32 vcc_lo, 0, v7
	v_lshrrev_b32_e32 v9, 2, v9
	v_cmp_lt_i32_e64 s1, 5, v14
	v_cmp_eq_u32_e64 s2, 3, v14
	v_cndmask_b32_e64 v7, 0, 1, vcc_lo
	v_cmp_lt_i32_e32 vcc_lo, 5, v13
	v_lshl_or_b32 v5, v5, 9, 0x7c00
	v_lshl_or_b32 v7, v7, 9, 0x7c00
	s_or_b32 vcc_lo, s0, vcc_lo
	v_add_co_ci_u32_e32 v11, vcc_lo, 0, v11, vcc_lo
	s_or_b32 vcc_lo, s2, s1
	v_add_co_ci_u32_e32 v9, vcc_lo, 0, v9, vcc_lo
	v_cmp_gt_i32_e32 vcc_lo, 31, v10
	v_cndmask_b32_e32 v11, 0x7c00, v11, vcc_lo
	v_cmp_gt_i32_e32 vcc_lo, 31, v12
	v_cndmask_b32_e32 v9, 0x7c00, v9, vcc_lo
	v_cmp_eq_u32_e32 vcc_lo, 0x40f, v10
	v_cndmask_b32_e32 v5, v11, v5, vcc_lo
	v_cmp_eq_u32_e32 vcc_lo, 0x40f, v12
	v_and_or_b32 v5, 0x8000, v6, v5
	v_cndmask_b32_e32 v7, v9, v7, vcc_lo
	v_add_co_u32 v3, vcc_lo, v3, s4
	v_add_co_ci_u32_e32 v4, vcc_lo, s3, v4, vcc_lo
	v_and_or_b32 v6, 0x8000, v8, v7
	v_and_b32_e32 v5, 0xffff, v5
	v_lshl_or_b32 v5, v6, 16, v5
	global_store_dword v[3:4], v5, off
	global_load_dword v7, v[0:1], off offset:1732
	ds_read2_b32 v[5:6], v2 offset0:177 offset1:240
	s_waitcnt lgkmcnt(0)
	v_lshrrev_b32_e32 v2, 16, v5
	s_waitcnt vmcnt(0)
	v_mul_f16_sdwa v8, v2, v7 dst_sel:DWORD dst_unused:UNUSED_PAD src0_sel:DWORD src1_sel:WORD_1
	v_mul_f16_sdwa v9, v5, v7 dst_sel:DWORD dst_unused:UNUSED_PAD src0_sel:DWORD src1_sel:WORD_1
	v_fmac_f16_e32 v8, v5, v7
	v_fma_f16 v2, v7, v2, -v9
	v_cvt_f32_f16_e32 v5, v8
	v_cvt_f32_f16_e32 v2, v2
	v_cvt_f64_f32_e32 v[7:8], v5
	v_cvt_f64_f32_e32 v[9:10], v2
	v_mul_f64 v[7:8], v[7:8], s[12:13]
	v_mul_f64 v[9:10], v[9:10], s[12:13]
	v_and_or_b32 v2, 0x1ff, v8, v7
	v_and_or_b32 v9, 0x1ff, v10, v9
	v_lshrrev_b32_e32 v5, 8, v8
	v_bfe_u32 v7, v8, 20, 11
	v_lshrrev_b32_e32 v11, 8, v10
	v_cmp_ne_u32_e32 vcc_lo, 0, v2
	v_bfe_u32 v12, v10, 20, 11
	v_lshrrev_b32_e32 v8, 16, v8
	v_sub_nc_u32_e32 v13, 0x3f1, v7
	v_add_nc_u32_e32 v7, 0xfffffc10, v7
	v_cndmask_b32_e64 v2, 0, 1, vcc_lo
	v_cmp_ne_u32_e32 vcc_lo, 0, v9
	v_and_or_b32 v2, 0xffe, v5, v2
	v_cndmask_b32_e64 v9, 0, 1, vcc_lo
	v_sub_nc_u32_e32 v5, 0x3f1, v12
	v_add_nc_u32_e32 v12, 0xfffffc10, v12
	v_and_or_b32 v9, 0xffe, v11, v9
	v_med3_i32 v11, v13, 0, 13
	v_or_b32_e32 v13, 0x1000, v2
	v_med3_i32 v5, v5, 0, 13
	v_or_b32_e32 v14, 0x1000, v9
	v_lshrrev_b32_e32 v15, v11, v13
	v_lshrrev_b32_e32 v16, v5, v14
	v_lshlrev_b32_e32 v11, v11, v15
	v_lshlrev_b32_e32 v5, v5, v16
	v_cmp_ne_u32_e32 vcc_lo, v11, v13
	v_lshl_or_b32 v13, v7, 12, v2
	v_cndmask_b32_e64 v11, 0, 1, vcc_lo
	v_cmp_ne_u32_e32 vcc_lo, v5, v14
	v_lshl_or_b32 v14, v12, 12, v9
	v_or_b32_e32 v11, v15, v11
	v_cndmask_b32_e64 v5, 0, 1, vcc_lo
	v_cmp_gt_i32_e32 vcc_lo, 1, v7
	v_or_b32_e32 v5, v16, v5
	v_cndmask_b32_e32 v11, v13, v11, vcc_lo
	v_cmp_gt_i32_e32 vcc_lo, 1, v12
	v_and_b32_e32 v13, 7, v11
	v_cndmask_b32_e32 v5, v14, v5, vcc_lo
	v_cmp_ne_u32_e32 vcc_lo, 0, v2
	v_lshrrev_b32_e32 v11, 2, v11
	v_cmp_eq_u32_e64 s0, 3, v13
	v_and_b32_e32 v14, 7, v5
	v_cndmask_b32_e64 v2, 0, 1, vcc_lo
	v_cmp_ne_u32_e32 vcc_lo, 0, v9
	v_lshrrev_b32_e32 v5, 2, v5
	v_cmp_lt_i32_e64 s1, 5, v14
	v_cmp_eq_u32_e64 s2, 3, v14
	v_cndmask_b32_e64 v9, 0, 1, vcc_lo
	v_cmp_lt_i32_e32 vcc_lo, 5, v13
	v_lshl_or_b32 v2, v2, 9, 0x7c00
	v_lshl_or_b32 v9, v9, 9, 0x7c00
	s_or_b32 vcc_lo, s0, vcc_lo
	v_add_co_ci_u32_e32 v11, vcc_lo, 0, v11, vcc_lo
	s_or_b32 vcc_lo, s2, s1
	v_add_co_ci_u32_e32 v5, vcc_lo, 0, v5, vcc_lo
	v_cmp_gt_i32_e32 vcc_lo, 31, v7
	v_cndmask_b32_e32 v11, 0x7c00, v11, vcc_lo
	v_cmp_gt_i32_e32 vcc_lo, 31, v12
	v_cndmask_b32_e32 v5, 0x7c00, v5, vcc_lo
	v_cmp_eq_u32_e32 vcc_lo, 0x40f, v7
	v_lshrrev_b32_e32 v7, 16, v10
	v_cndmask_b32_e32 v2, v11, v2, vcc_lo
	v_cmp_eq_u32_e32 vcc_lo, 0x40f, v12
	v_and_or_b32 v2, 0x8000, v8, v2
	v_cndmask_b32_e32 v5, v5, v9, vcc_lo
	v_and_or_b32 v5, 0x8000, v7, v5
	v_and_b32_e32 v7, 0xffff, v2
	v_add_co_u32 v2, vcc_lo, v3, s4
	v_add_co_ci_u32_e32 v3, vcc_lo, s3, v4, vcc_lo
	v_lshl_or_b32 v4, v5, 16, v7
	global_store_dword v[2:3], v4, off
	global_load_dword v0, v[0:1], off offset:1984
	v_lshrrev_b32_e32 v1, 16, v6
	s_waitcnt vmcnt(0)
	v_mul_f16_sdwa v4, v1, v0 dst_sel:DWORD dst_unused:UNUSED_PAD src0_sel:DWORD src1_sel:WORD_1
	v_mul_f16_sdwa v5, v6, v0 dst_sel:DWORD dst_unused:UNUSED_PAD src0_sel:DWORD src1_sel:WORD_1
	v_fmac_f16_e32 v4, v6, v0
	v_fma_f16 v0, v0, v1, -v5
	v_cvt_f32_f16_e32 v1, v4
	v_cvt_f32_f16_e32 v4, v0
	v_cvt_f64_f32_e32 v[0:1], v1
	v_cvt_f64_f32_e32 v[4:5], v4
	v_mul_f64 v[0:1], v[0:1], s[12:13]
	v_mul_f64 v[4:5], v[4:5], s[12:13]
	v_and_or_b32 v0, 0x1ff, v1, v0
	v_and_or_b32 v4, 0x1ff, v5, v4
	v_lshrrev_b32_e32 v6, 8, v1
	v_bfe_u32 v7, v1, 20, 11
	v_lshrrev_b32_e32 v8, 8, v5
	v_cmp_ne_u32_e32 vcc_lo, 0, v0
	v_bfe_u32 v9, v5, 20, 11
	v_lshrrev_b32_e32 v1, 16, v1
	v_sub_nc_u32_e32 v10, 0x3f1, v7
	v_add_nc_u32_e32 v7, 0xfffffc10, v7
	v_cndmask_b32_e64 v0, 0, 1, vcc_lo
	v_cmp_ne_u32_e32 vcc_lo, 0, v4
	v_lshrrev_b32_e32 v5, 16, v5
	v_and_or_b32 v0, 0xffe, v6, v0
	v_cndmask_b32_e64 v4, 0, 1, vcc_lo
	v_sub_nc_u32_e32 v6, 0x3f1, v9
	v_add_nc_u32_e32 v9, 0xfffffc10, v9
	v_and_or_b32 v4, 0xffe, v8, v4
	v_med3_i32 v8, v10, 0, 13
	v_or_b32_e32 v10, 0x1000, v0
	v_med3_i32 v6, v6, 0, 13
	v_or_b32_e32 v11, 0x1000, v4
	v_lshrrev_b32_e32 v12, v8, v10
	v_lshrrev_b32_e32 v13, v6, v11
	v_lshlrev_b32_e32 v8, v8, v12
	v_lshlrev_b32_e32 v6, v6, v13
	v_cmp_ne_u32_e32 vcc_lo, v8, v10
	v_lshl_or_b32 v10, v7, 12, v0
	v_cndmask_b32_e64 v8, 0, 1, vcc_lo
	v_cmp_ne_u32_e32 vcc_lo, v6, v11
	v_lshl_or_b32 v11, v9, 12, v4
	v_or_b32_e32 v8, v12, v8
	v_cndmask_b32_e64 v6, 0, 1, vcc_lo
	v_cmp_gt_i32_e32 vcc_lo, 1, v7
	v_or_b32_e32 v6, v13, v6
	v_cndmask_b32_e32 v8, v10, v8, vcc_lo
	v_cmp_gt_i32_e32 vcc_lo, 1, v9
	v_and_b32_e32 v10, 7, v8
	v_cndmask_b32_e32 v6, v11, v6, vcc_lo
	v_cmp_ne_u32_e32 vcc_lo, 0, v0
	v_lshrrev_b32_e32 v8, 2, v8
	v_cmp_eq_u32_e64 s0, 3, v10
	v_and_b32_e32 v11, 7, v6
	v_cndmask_b32_e64 v0, 0, 1, vcc_lo
	v_cmp_ne_u32_e32 vcc_lo, 0, v4
	v_lshrrev_b32_e32 v6, 2, v6
	v_cmp_lt_i32_e64 s1, 5, v11
	v_cmp_eq_u32_e64 s2, 3, v11
	v_cndmask_b32_e64 v4, 0, 1, vcc_lo
	v_cmp_lt_i32_e32 vcc_lo, 5, v10
	v_lshl_or_b32 v0, v0, 9, 0x7c00
	v_lshl_or_b32 v4, v4, 9, 0x7c00
	s_or_b32 vcc_lo, s0, vcc_lo
	v_add_co_ci_u32_e32 v8, vcc_lo, 0, v8, vcc_lo
	s_or_b32 vcc_lo, s2, s1
	v_add_co_ci_u32_e32 v6, vcc_lo, 0, v6, vcc_lo
	v_cmp_gt_i32_e32 vcc_lo, 31, v7
	v_cndmask_b32_e32 v8, 0x7c00, v8, vcc_lo
	v_cmp_gt_i32_e32 vcc_lo, 31, v9
	v_cndmask_b32_e32 v6, 0x7c00, v6, vcc_lo
	v_cmp_eq_u32_e32 vcc_lo, 0x40f, v7
	v_cndmask_b32_e32 v0, v8, v0, vcc_lo
	v_cmp_eq_u32_e32 vcc_lo, 0x40f, v9
	v_and_or_b32 v0, 0x8000, v1, v0
	v_cndmask_b32_e32 v4, v6, v4, vcc_lo
	v_and_b32_e32 v0, 0xffff, v0
	v_and_or_b32 v1, 0x8000, v5, v4
	v_lshl_or_b32 v4, v1, 16, v0
	v_add_co_u32 v0, vcc_lo, v2, s4
	v_add_co_ci_u32_e32 v1, vcc_lo, s3, v3, vcc_lo
	global_store_dword v[0:1], v4, off
.LBB0_23:
	s_endpgm
	.section	.rodata,"a",@progbits
	.p2align	6, 0x0
	.amdhsa_kernel bluestein_single_back_len1071_dim1_half_op_CI_CI
		.amdhsa_group_segment_fixed_size 4284
		.amdhsa_private_segment_fixed_size 0
		.amdhsa_kernarg_size 104
		.amdhsa_user_sgpr_count 6
		.amdhsa_user_sgpr_private_segment_buffer 1
		.amdhsa_user_sgpr_dispatch_ptr 0
		.amdhsa_user_sgpr_queue_ptr 0
		.amdhsa_user_sgpr_kernarg_segment_ptr 1
		.amdhsa_user_sgpr_dispatch_id 0
		.amdhsa_user_sgpr_flat_scratch_init 0
		.amdhsa_user_sgpr_private_segment_size 0
		.amdhsa_wavefront_size32 1
		.amdhsa_uses_dynamic_stack 0
		.amdhsa_system_sgpr_private_segment_wavefront_offset 0
		.amdhsa_system_sgpr_workgroup_id_x 1
		.amdhsa_system_sgpr_workgroup_id_y 0
		.amdhsa_system_sgpr_workgroup_id_z 0
		.amdhsa_system_sgpr_workgroup_info 0
		.amdhsa_system_vgpr_workitem_id 0
		.amdhsa_next_free_vgpr 193
		.amdhsa_next_free_sgpr 16
		.amdhsa_reserve_vcc 1
		.amdhsa_reserve_flat_scratch 0
		.amdhsa_float_round_mode_32 0
		.amdhsa_float_round_mode_16_64 0
		.amdhsa_float_denorm_mode_32 3
		.amdhsa_float_denorm_mode_16_64 3
		.amdhsa_dx10_clamp 1
		.amdhsa_ieee_mode 1
		.amdhsa_fp16_overflow 0
		.amdhsa_workgroup_processor_mode 1
		.amdhsa_memory_ordered 1
		.amdhsa_forward_progress 0
		.amdhsa_shared_vgpr_count 0
		.amdhsa_exception_fp_ieee_invalid_op 0
		.amdhsa_exception_fp_denorm_src 0
		.amdhsa_exception_fp_ieee_div_zero 0
		.amdhsa_exception_fp_ieee_overflow 0
		.amdhsa_exception_fp_ieee_underflow 0
		.amdhsa_exception_fp_ieee_inexact 0
		.amdhsa_exception_int_div_zero 0
	.end_amdhsa_kernel
	.text
.Lfunc_end0:
	.size	bluestein_single_back_len1071_dim1_half_op_CI_CI, .Lfunc_end0-bluestein_single_back_len1071_dim1_half_op_CI_CI
                                        ; -- End function
	.section	.AMDGPU.csdata,"",@progbits
; Kernel info:
; codeLenInByte = 29228
; NumSgprs: 18
; NumVgprs: 193
; ScratchSize: 0
; MemoryBound: 0
; FloatMode: 240
; IeeeMode: 1
; LDSByteSize: 4284 bytes/workgroup (compile time only)
; SGPRBlocks: 2
; VGPRBlocks: 24
; NumSGPRsForWavesPerEU: 18
; NumVGPRsForWavesPerEU: 193
; Occupancy: 4
; WaveLimiterHint : 1
; COMPUTE_PGM_RSRC2:SCRATCH_EN: 0
; COMPUTE_PGM_RSRC2:USER_SGPR: 6
; COMPUTE_PGM_RSRC2:TRAP_HANDLER: 0
; COMPUTE_PGM_RSRC2:TGID_X_EN: 1
; COMPUTE_PGM_RSRC2:TGID_Y_EN: 0
; COMPUTE_PGM_RSRC2:TGID_Z_EN: 0
; COMPUTE_PGM_RSRC2:TIDIG_COMP_CNT: 0
	.text
	.p2alignl 6, 3214868480
	.fill 48, 4, 3214868480
	.type	__hip_cuid_ad09e85241b48fbb,@object ; @__hip_cuid_ad09e85241b48fbb
	.section	.bss,"aw",@nobits
	.globl	__hip_cuid_ad09e85241b48fbb
__hip_cuid_ad09e85241b48fbb:
	.byte	0                               ; 0x0
	.size	__hip_cuid_ad09e85241b48fbb, 1

	.ident	"AMD clang version 19.0.0git (https://github.com/RadeonOpenCompute/llvm-project roc-6.4.0 25133 c7fe45cf4b819c5991fe208aaa96edf142730f1d)"
	.section	".note.GNU-stack","",@progbits
	.addrsig
	.addrsig_sym __hip_cuid_ad09e85241b48fbb
	.amdgpu_metadata
---
amdhsa.kernels:
  - .args:
      - .actual_access:  read_only
        .address_space:  global
        .offset:         0
        .size:           8
        .value_kind:     global_buffer
      - .actual_access:  read_only
        .address_space:  global
        .offset:         8
        .size:           8
        .value_kind:     global_buffer
      - .actual_access:  read_only
        .address_space:  global
        .offset:         16
        .size:           8
        .value_kind:     global_buffer
      - .actual_access:  read_only
        .address_space:  global
        .offset:         24
        .size:           8
        .value_kind:     global_buffer
      - .actual_access:  read_only
        .address_space:  global
        .offset:         32
        .size:           8
        .value_kind:     global_buffer
      - .offset:         40
        .size:           8
        .value_kind:     by_value
      - .address_space:  global
        .offset:         48
        .size:           8
        .value_kind:     global_buffer
      - .address_space:  global
        .offset:         56
        .size:           8
        .value_kind:     global_buffer
      - .address_space:  global
        .offset:         64
        .size:           8
        .value_kind:     global_buffer
      - .address_space:  global
        .offset:         72
        .size:           8
        .value_kind:     global_buffer
      - .offset:         80
        .size:           4
        .value_kind:     by_value
      - .address_space:  global
        .offset:         88
        .size:           8
        .value_kind:     global_buffer
      - .address_space:  global
        .offset:         96
        .size:           8
        .value_kind:     global_buffer
    .group_segment_fixed_size: 4284
    .kernarg_segment_align: 8
    .kernarg_segment_size: 104
    .language:       OpenCL C
    .language_version:
      - 2
      - 0
    .max_flat_workgroup_size: 119
    .name:           bluestein_single_back_len1071_dim1_half_op_CI_CI
    .private_segment_fixed_size: 0
    .sgpr_count:     18
    .sgpr_spill_count: 0
    .symbol:         bluestein_single_back_len1071_dim1_half_op_CI_CI.kd
    .uniform_work_group_size: 1
    .uses_dynamic_stack: false
    .vgpr_count:     193
    .vgpr_spill_count: 0
    .wavefront_size: 32
    .workgroup_processor_mode: 1
amdhsa.target:   amdgcn-amd-amdhsa--gfx1030
amdhsa.version:
  - 1
  - 2
...

	.end_amdgpu_metadata
